;; amdgpu-corpus repo=ggml-org/llama.cpp kind=compiled arch=gfx906 opt=O3
	.amdgcn_target "amdgcn-amd-amdhsa--gfx906"
	.amdhsa_code_object_version 6
	.section	.text._ZL10tri_kernelIfLb1ELi0EEvPKT_PS0_llllllllllll,"axG",@progbits,_ZL10tri_kernelIfLb1ELi0EEvPKT_PS0_llllllllllll,comdat
	.globl	_ZL10tri_kernelIfLb1ELi0EEvPKT_PS0_llllllllllll ; -- Begin function _ZL10tri_kernelIfLb1ELi0EEvPKT_PS0_llllllllllll
	.p2align	8
	.type	_ZL10tri_kernelIfLb1ELi0EEvPKT_PS0_llllllllllll,@function
_ZL10tri_kernelIfLb1ELi0EEvPKT_PS0_llllllllllll: ; @_ZL10tri_kernelIfLb1ELi0EEvPKT_PS0_llllllllllll
; %bb.0:
	s_load_dwordx8 s[12:19], s[4:5], 0x0
	s_load_dwordx4 s[0:3], s[4:5], 0x20
	s_mov_b32 s9, 0
	v_mov_b32_e32 v1, s8
	s_mov_b32 s24, s7
	v_mov_b32_e32 v2, s9
	s_mov_b32 s25, s9
	s_waitcnt lgkmcnt(0)
	v_cmp_le_i64_e32 vcc, s[2:3], v[1:2]
	v_mov_b32_e32 v1, s24
	v_mov_b32_e32 v2, s25
	s_mov_b32 s7, s9
	v_cmp_le_i64_e64 s[0:1], s[0:1], v[1:2]
	v_mov_b32_e32 v1, s6
	v_mov_b32_e32 v2, s7
	v_cmp_le_i64_e64 s[2:3], s[18:19], v[1:2]
	s_or_b64 s[0:1], s[0:1], vcc
	s_or_b64 s[0:1], s[2:3], s[0:1]
	s_and_b64 vcc, exec, s[0:1]
	s_cbranch_vccnz .LBB0_7
; %bb.1:
	s_load_dwordx2 s[10:11], s[4:5], 0x68
	s_load_dwordx4 s[0:3], s[4:5], 0x58
	v_mov_b32_e32 v1, 0
	v_cmp_gt_u32_e32 vcc, s6, v0
	s_waitcnt lgkmcnt(0)
	s_mul_i32 s28, s11, s8
	s_mul_hi_u32 s30, s10, s8
	s_mul_i32 s18, s10, s8
	s_mul_i32 s27, s3, s24
	s_mul_hi_u32 s29, s2, s24
	s_mul_i32 s20, s2, s24
	;; [unrolled: 3-line block ×3, first 2 shown]
	s_and_saveexec_b64 s[22:23], vcc
	s_cbranch_execz .LBB0_4
; %bb.2:
	s_load_dword s9, s[4:5], 0x7c
	s_load_dwordx4 s[0:3], s[4:5], 0x38
	s_load_dwordx2 s[34:35], s[4:5], 0x48
	s_add_i32 s19, s30, s28
	s_add_i32 s21, s29, s27
	s_lshl_b64 s[36:37], s[18:19], 2
	s_waitcnt lgkmcnt(0)
	s_and_b32 s19, s9, 0xffff
	s_lshl_b64 s[38:39], s[20:21], 2
	s_add_u32 s9, s36, s38
	s_addc_u32 s21, s37, s39
	s_add_i32 s11, s26, s25
	s_lshl_b64 s[36:37], s[10:11], 2
	s_add_u32 s9, s9, s36
	s_addc_u32 s11, s21, s37
	v_lshlrev_b32_e32 v2, 2, v0
	s_add_u32 s9, s14, s9
	v_add_co_u32_e32 v3, vcc, s9, v2
	s_mul_i32 s9, s35, s8
	s_mul_hi_u32 s21, s34, s8
	s_addc_u32 s11, s15, s11
	s_add_i32 s9, s21, s9
	s_mul_i32 s3, s3, s24
	s_mul_hi_u32 s21, s2, s24
	s_mul_i32 s8, s34, s8
	s_add_i32 s3, s21, s3
	s_mul_i32 s2, s2, s24
	v_mov_b32_e32 v4, s11
	s_lshl_b32 s11, s19, 2
	s_lshl_b64 s[8:9], s[8:9], 2
	s_lshl_b64 s[2:3], s[2:3], 2
	s_add_u32 s2, s8, s2
	s_mul_i32 s1, s1, s6
	s_mul_hi_u32 s8, s0, s6
	s_addc_u32 s3, s9, s3
	s_add_i32 s1, s8, s1
	s_mul_i32 s0, s0, s6
	s_lshl_b64 s[0:1], s[0:1], 2
	s_add_u32 s0, s2, s0
	s_addc_u32 s1, s3, s1
	s_add_u32 s0, s12, s0
	v_addc_co_u32_e32 v4, vcc, 0, v4, vcc
	s_addc_u32 s1, s13, s1
	v_mov_b32_e32 v6, s1
	v_add_co_u32_e32 v5, vcc, s0, v2
	v_mov_b32_e32 v2, v1
	v_addc_co_u32_e32 v6, vcc, 0, v6, vcc
	s_mov_b64 s[2:3], 0
	s_mov_b64 s[8:9], 0
	v_mov_b32_e32 v1, v0
.LBB0_3:                                ; =>This Inner Loop Header: Depth=1
	v_mov_b32_e32 v9, s9
	v_add_co_u32_e32 v7, vcc, s8, v5
	v_addc_co_u32_e32 v8, vcc, v6, v9, vcc
	global_load_dword v10, v[7:8], off
	v_add_co_u32_e32 v7, vcc, s8, v3
	v_add_co_u32_e64 v1, s[0:1], s19, v1
	v_addc_co_u32_e64 v2, s[0:1], 0, v2, s[0:1]
	v_addc_co_u32_e32 v8, vcc, v4, v9, vcc
	s_add_u32 s8, s8, s11
	v_cmp_le_u64_e32 vcc, s[6:7], v[1:2]
	s_addc_u32 s9, s9, 0
	s_or_b64 s[2:3], vcc, s[2:3]
	s_waitcnt vmcnt(0)
	global_store_dword v[7:8], v10, off
	s_andn2_b64 exec, exec, s[2:3]
	s_cbranch_execnz .LBB0_3
.LBB0_4:
	s_or_b64 exec, exec, s[22:23]
	v_add_co_u32_e32 v0, vcc, s6, v0
	v_addc_co_u32_e64 v1, s[0:1], 0, 0, vcc
	v_cmp_gt_i64_e32 vcc, s[16:17], v[0:1]
	s_and_saveexec_b64 s[0:1], vcc
	s_cbranch_execz .LBB0_7
; %bb.5:
	s_load_dword s4, s[4:5], 0x7c
	s_add_i32 s19, s30, s28
	s_add_i32 s21, s29, s27
	s_lshl_b64 s[0:1], s[18:19], 2
	s_lshl_b64 s[2:3], s[20:21], 2
	s_waitcnt lgkmcnt(0)
	s_and_b32 s4, s4, 0xffff
	s_add_u32 s2, s0, s2
	s_addc_u32 s3, s1, s3
	s_add_i32 s11, s26, s25
	s_lshl_b64 s[0:1], s[10:11], 2
	s_add_u32 s0, s2, s0
	s_addc_u32 s1, s3, s1
	v_lshlrev_b64 v[2:3], 2, v[0:1]
	s_add_u32 s0, s14, s0
	s_addc_u32 s1, s15, s1
	v_mov_b32_e32 v4, s1
	v_add_co_u32_e32 v2, vcc, s0, v2
	v_addc_co_u32_e32 v3, vcc, v4, v3, vcc
	s_lshl_b32 s5, s4, 2
	s_mov_b64 s[2:3], 0
	v_mov_b32_e32 v4, 0
.LBB0_6:                                ; =>This Inner Loop Header: Depth=1
	v_add_co_u32_e32 v0, vcc, s4, v0
	v_addc_co_u32_e32 v1, vcc, 0, v1, vcc
	v_cmp_le_i64_e64 s[0:1], s[16:17], v[0:1]
	global_store_dword v[2:3], v4, off
	v_add_co_u32_e32 v2, vcc, s5, v2
	s_or_b64 s[2:3], s[0:1], s[2:3]
	v_addc_co_u32_e32 v3, vcc, 0, v3, vcc
	s_andn2_b64 exec, exec, s[2:3]
	s_cbranch_execnz .LBB0_6
.LBB0_7:
	s_endpgm
	.section	.rodata,"a",@progbits
	.p2align	6, 0x0
	.amdhsa_kernel _ZL10tri_kernelIfLb1ELi0EEvPKT_PS0_llllllllllll
		.amdhsa_group_segment_fixed_size 0
		.amdhsa_private_segment_fixed_size 0
		.amdhsa_kernarg_size 368
		.amdhsa_user_sgpr_count 6
		.amdhsa_user_sgpr_private_segment_buffer 1
		.amdhsa_user_sgpr_dispatch_ptr 0
		.amdhsa_user_sgpr_queue_ptr 0
		.amdhsa_user_sgpr_kernarg_segment_ptr 1
		.amdhsa_user_sgpr_dispatch_id 0
		.amdhsa_user_sgpr_flat_scratch_init 0
		.amdhsa_user_sgpr_private_segment_size 0
		.amdhsa_uses_dynamic_stack 0
		.amdhsa_system_sgpr_private_segment_wavefront_offset 0
		.amdhsa_system_sgpr_workgroup_id_x 1
		.amdhsa_system_sgpr_workgroup_id_y 1
		.amdhsa_system_sgpr_workgroup_id_z 1
		.amdhsa_system_sgpr_workgroup_info 0
		.amdhsa_system_vgpr_workitem_id 0
		.amdhsa_next_free_vgpr 11
		.amdhsa_next_free_sgpr 40
		.amdhsa_reserve_vcc 1
		.amdhsa_reserve_flat_scratch 0
		.amdhsa_float_round_mode_32 0
		.amdhsa_float_round_mode_16_64 0
		.amdhsa_float_denorm_mode_32 3
		.amdhsa_float_denorm_mode_16_64 3
		.amdhsa_dx10_clamp 1
		.amdhsa_ieee_mode 1
		.amdhsa_fp16_overflow 0
		.amdhsa_exception_fp_ieee_invalid_op 0
		.amdhsa_exception_fp_denorm_src 0
		.amdhsa_exception_fp_ieee_div_zero 0
		.amdhsa_exception_fp_ieee_overflow 0
		.amdhsa_exception_fp_ieee_underflow 0
		.amdhsa_exception_fp_ieee_inexact 0
		.amdhsa_exception_int_div_zero 0
	.end_amdhsa_kernel
	.section	.text._ZL10tri_kernelIfLb1ELi0EEvPKT_PS0_llllllllllll,"axG",@progbits,_ZL10tri_kernelIfLb1ELi0EEvPKT_PS0_llllllllllll,comdat
.Lfunc_end0:
	.size	_ZL10tri_kernelIfLb1ELi0EEvPKT_PS0_llllllllllll, .Lfunc_end0-_ZL10tri_kernelIfLb1ELi0EEvPKT_PS0_llllllllllll
                                        ; -- End function
	.set _ZL10tri_kernelIfLb1ELi0EEvPKT_PS0_llllllllllll.num_vgpr, 11
	.set _ZL10tri_kernelIfLb1ELi0EEvPKT_PS0_llllllllllll.num_agpr, 0
	.set _ZL10tri_kernelIfLb1ELi0EEvPKT_PS0_llllllllllll.numbered_sgpr, 40
	.set _ZL10tri_kernelIfLb1ELi0EEvPKT_PS0_llllllllllll.num_named_barrier, 0
	.set _ZL10tri_kernelIfLb1ELi0EEvPKT_PS0_llllllllllll.private_seg_size, 0
	.set _ZL10tri_kernelIfLb1ELi0EEvPKT_PS0_llllllllllll.uses_vcc, 1
	.set _ZL10tri_kernelIfLb1ELi0EEvPKT_PS0_llllllllllll.uses_flat_scratch, 0
	.set _ZL10tri_kernelIfLb1ELi0EEvPKT_PS0_llllllllllll.has_dyn_sized_stack, 0
	.set _ZL10tri_kernelIfLb1ELi0EEvPKT_PS0_llllllllllll.has_recursion, 0
	.set _ZL10tri_kernelIfLb1ELi0EEvPKT_PS0_llllllllllll.has_indirect_call, 0
	.section	.AMDGPU.csdata,"",@progbits
; Kernel info:
; codeLenInByte = 640
; TotalNumSgprs: 44
; NumVgprs: 11
; ScratchSize: 0
; MemoryBound: 0
; FloatMode: 240
; IeeeMode: 1
; LDSByteSize: 0 bytes/workgroup (compile time only)
; SGPRBlocks: 5
; VGPRBlocks: 2
; NumSGPRsForWavesPerEU: 44
; NumVGPRsForWavesPerEU: 11
; Occupancy: 10
; WaveLimiterHint : 0
; COMPUTE_PGM_RSRC2:SCRATCH_EN: 0
; COMPUTE_PGM_RSRC2:USER_SGPR: 6
; COMPUTE_PGM_RSRC2:TRAP_HANDLER: 0
; COMPUTE_PGM_RSRC2:TGID_X_EN: 1
; COMPUTE_PGM_RSRC2:TGID_Y_EN: 1
; COMPUTE_PGM_RSRC2:TGID_Z_EN: 1
; COMPUTE_PGM_RSRC2:TIDIG_COMP_CNT: 0
	.section	.text._ZL10tri_kernelIfLb1ELi1EEvPKT_PS0_llllllllllll,"axG",@progbits,_ZL10tri_kernelIfLb1ELi1EEvPKT_PS0_llllllllllll,comdat
	.globl	_ZL10tri_kernelIfLb1ELi1EEvPKT_PS0_llllllllllll ; -- Begin function _ZL10tri_kernelIfLb1ELi1EEvPKT_PS0_llllllllllll
	.p2align	8
	.type	_ZL10tri_kernelIfLb1ELi1EEvPKT_PS0_llllllllllll,@function
_ZL10tri_kernelIfLb1ELi1EEvPKT_PS0_llllllllllll: ; @_ZL10tri_kernelIfLb1ELi1EEvPKT_PS0_llllllllllll
; %bb.0:
	s_load_dwordx8 s[12:19], s[4:5], 0x0
	s_load_dwordx4 s[0:3], s[4:5], 0x20
	s_mov_b32 s9, 0
	v_mov_b32_e32 v1, s8
	s_mov_b32 s24, s7
	v_mov_b32_e32 v2, s9
	s_mov_b32 s25, s9
	s_waitcnt lgkmcnt(0)
	v_cmp_le_i64_e32 vcc, s[2:3], v[1:2]
	v_mov_b32_e32 v1, s24
	v_mov_b32_e32 v2, s25
	s_mov_b32 s7, s9
	v_cmp_le_i64_e64 s[0:1], s[0:1], v[1:2]
	v_mov_b32_e32 v1, s6
	v_mov_b32_e32 v2, s7
	v_cmp_le_i64_e64 s[2:3], s[18:19], v[1:2]
	s_or_b64 s[0:1], s[0:1], vcc
	s_or_b64 s[0:1], s[2:3], s[0:1]
	s_and_b64 vcc, exec, s[0:1]
	s_cbranch_vccnz .LBB1_7
; %bb.1:
	s_load_dwordx4 s[20:23], s[4:5], 0x58
	s_load_dwordx2 s[0:1], s[4:5], 0x68
	v_mov_b32_e32 v1, 0
	v_cmp_ge_u32_e32 vcc, s6, v0
	s_waitcnt lgkmcnt(0)
	s_mul_i32 s3, s23, s24
	s_mul_hi_u32 s9, s22, s24
	s_mul_i32 s1, s1, s8
	s_add_i32 s3, s9, s3
	s_mul_hi_u32 s9, s0, s8
	s_mul_i32 s2, s22, s24
	s_add_i32 s11, s9, s1
	s_mul_i32 s10, s0, s8
	s_and_saveexec_b64 s[18:19], vcc
	s_cbranch_execz .LBB1_4
; %bb.2:
	s_load_dword s9, s[4:5], 0x7c
	s_load_dwordx4 s[28:31], s[4:5], 0x38
	s_load_dwordx2 s[0:1], s[4:5], 0x48
	s_lshl_b64 s[26:27], s[10:11], 2
	s_lshl_b64 s[34:35], s[2:3], 2
	s_waitcnt lgkmcnt(0)
	s_and_b32 s22, s9, 0xffff
	s_add_u32 s9, s26, s34
	s_mul_i32 s25, s21, s6
	s_mul_hi_u32 s26, s20, s6
	s_addc_u32 s23, s27, s35
	s_add_i32 s27, s26, s25
	s_mul_i32 s26, s20, s6
	s_lshl_b64 s[26:27], s[26:27], 2
	s_add_u32 s9, s9, s26
	s_addc_u32 s23, s23, s27
	v_lshlrev_b32_e32 v2, 2, v0
	s_add_u32 s9, s14, s9
	v_add_co_u32_e32 v3, vcc, s9, v2
	s_mul_i32 s1, s1, s8
	s_mul_hi_u32 s9, s0, s8
	s_addc_u32 s23, s15, s23
	s_add_i32 s1, s9, s1
	s_mul_i32 s0, s0, s8
	s_mul_i32 s8, s31, s24
	s_mul_hi_u32 s9, s30, s24
	s_add_i32 s9, s9, s8
	s_mul_i32 s8, s30, s24
	v_mov_b32_e32 v4, s23
	s_lshl_b32 s23, s22, 2
	s_lshl_b64 s[0:1], s[0:1], 2
	s_lshl_b64 s[8:9], s[8:9], 2
	s_add_u32 s8, s0, s8
	s_addc_u32 s9, s1, s9
	s_mul_i32 s0, s29, s6
	s_mul_hi_u32 s1, s28, s6
	s_add_i32 s1, s1, s0
	s_mul_i32 s0, s28, s6
	s_lshl_b64 s[0:1], s[0:1], 2
	s_add_u32 s0, s8, s0
	s_addc_u32 s1, s9, s1
	s_add_u32 s0, s12, s0
	v_addc_co_u32_e32 v4, vcc, 0, v4, vcc
	s_addc_u32 s1, s13, s1
	v_mov_b32_e32 v6, s1
	v_add_co_u32_e32 v5, vcc, s0, v2
	v_mov_b32_e32 v2, v1
	v_addc_co_u32_e32 v6, vcc, 0, v6, vcc
	s_mov_b64 s[8:9], 0
	s_mov_b64 s[12:13], 0
	v_mov_b32_e32 v1, v0
.LBB1_3:                                ; =>This Inner Loop Header: Depth=1
	v_mov_b32_e32 v9, s13
	v_add_co_u32_e32 v7, vcc, s12, v5
	v_addc_co_u32_e32 v8, vcc, v6, v9, vcc
	global_load_dword v10, v[7:8], off
	v_add_co_u32_e32 v7, vcc, s12, v3
	v_add_co_u32_e64 v1, s[0:1], s22, v1
	v_addc_co_u32_e64 v2, s[0:1], 0, v2, s[0:1]
	v_addc_co_u32_e32 v8, vcc, v4, v9, vcc
	s_add_u32 s12, s12, s23
	v_cmp_lt_u64_e32 vcc, s[6:7], v[1:2]
	s_addc_u32 s13, s13, 0
	s_or_b64 s[8:9], vcc, s[8:9]
	s_waitcnt vmcnt(0)
	global_store_dword v[7:8], v10, off
	s_andn2_b64 exec, exec, s[8:9]
	s_cbranch_execnz .LBB1_3
.LBB1_4:
	s_or_b64 exec, exec, s[18:19]
	s_add_u32 s0, s6, 1
	s_addc_u32 s1, 0, 0
	v_mov_b32_e32 v2, s1
	v_add_co_u32_e32 v1, vcc, s0, v0
	v_addc_co_u32_e32 v2, vcc, 0, v2, vcc
	v_cmp_gt_i64_e32 vcc, s[16:17], v[1:2]
	s_and_saveexec_b64 s[0:1], vcc
	s_cbranch_execz .LBB1_7
; %bb.5:
	s_load_dword s0, s[4:5], 0x7c
	s_waitcnt lgkmcnt(0)
	s_and_b32 s4, s0, 0xffff
	s_add_u32 s0, s10, s2
	s_addc_u32 s1, s11, s3
	s_add_u32 s2, s20, 1
	s_addc_u32 s3, s21, 0
	s_mul_hi_u32 s5, s2, s6
	s_mul_i32 s3, s3, s6
	s_mul_i32 s2, s2, s6
	s_add_i32 s5, s5, s3
	s_add_u32 s0, s0, s2
	s_addc_u32 s1, s1, s5
	v_mov_b32_e32 v4, s1
	v_add_co_u32_e32 v3, vcc, s0, v0
	v_addc_co_u32_e32 v4, vcc, 0, v4, vcc
	v_lshlrev_b64 v[3:4], 2, v[3:4]
	v_mov_b32_e32 v0, s15
	v_add_co_u32_e32 v3, vcc, s14, v3
	v_addc_co_u32_e32 v0, vcc, v0, v4, vcc
	v_add_co_u32_e32 v3, vcc, 4, v3
	v_addc_co_u32_e32 v4, vcc, 0, v0, vcc
	s_lshl_b32 s5, s4, 2
	s_mov_b64 s[2:3], 0
	v_mov_b32_e32 v0, 0
.LBB1_6:                                ; =>This Inner Loop Header: Depth=1
	v_add_co_u32_e32 v1, vcc, s4, v1
	v_addc_co_u32_e32 v2, vcc, 0, v2, vcc
	v_cmp_le_i64_e64 s[0:1], s[16:17], v[1:2]
	global_store_dword v[3:4], v0, off
	v_add_co_u32_e32 v3, vcc, s5, v3
	s_or_b64 s[2:3], s[0:1], s[2:3]
	v_addc_co_u32_e32 v4, vcc, 0, v4, vcc
	s_andn2_b64 exec, exec, s[2:3]
	s_cbranch_execnz .LBB1_6
.LBB1_7:
	s_endpgm
	.section	.rodata,"a",@progbits
	.p2align	6, 0x0
	.amdhsa_kernel _ZL10tri_kernelIfLb1ELi1EEvPKT_PS0_llllllllllll
		.amdhsa_group_segment_fixed_size 0
		.amdhsa_private_segment_fixed_size 0
		.amdhsa_kernarg_size 368
		.amdhsa_user_sgpr_count 6
		.amdhsa_user_sgpr_private_segment_buffer 1
		.amdhsa_user_sgpr_dispatch_ptr 0
		.amdhsa_user_sgpr_queue_ptr 0
		.amdhsa_user_sgpr_kernarg_segment_ptr 1
		.amdhsa_user_sgpr_dispatch_id 0
		.amdhsa_user_sgpr_flat_scratch_init 0
		.amdhsa_user_sgpr_private_segment_size 0
		.amdhsa_uses_dynamic_stack 0
		.amdhsa_system_sgpr_private_segment_wavefront_offset 0
		.amdhsa_system_sgpr_workgroup_id_x 1
		.amdhsa_system_sgpr_workgroup_id_y 1
		.amdhsa_system_sgpr_workgroup_id_z 1
		.amdhsa_system_sgpr_workgroup_info 0
		.amdhsa_system_vgpr_workitem_id 0
		.amdhsa_next_free_vgpr 11
		.amdhsa_next_free_sgpr 36
		.amdhsa_reserve_vcc 1
		.amdhsa_reserve_flat_scratch 0
		.amdhsa_float_round_mode_32 0
		.amdhsa_float_round_mode_16_64 0
		.amdhsa_float_denorm_mode_32 3
		.amdhsa_float_denorm_mode_16_64 3
		.amdhsa_dx10_clamp 1
		.amdhsa_ieee_mode 1
		.amdhsa_fp16_overflow 0
		.amdhsa_exception_fp_ieee_invalid_op 0
		.amdhsa_exception_fp_denorm_src 0
		.amdhsa_exception_fp_ieee_div_zero 0
		.amdhsa_exception_fp_ieee_overflow 0
		.amdhsa_exception_fp_ieee_underflow 0
		.amdhsa_exception_fp_ieee_inexact 0
		.amdhsa_exception_int_div_zero 0
	.end_amdhsa_kernel
	.section	.text._ZL10tri_kernelIfLb1ELi1EEvPKT_PS0_llllllllllll,"axG",@progbits,_ZL10tri_kernelIfLb1ELi1EEvPKT_PS0_llllllllllll,comdat
.Lfunc_end1:
	.size	_ZL10tri_kernelIfLb1ELi1EEvPKT_PS0_llllllllllll, .Lfunc_end1-_ZL10tri_kernelIfLb1ELi1EEvPKT_PS0_llllllllllll
                                        ; -- End function
	.set _ZL10tri_kernelIfLb1ELi1EEvPKT_PS0_llllllllllll.num_vgpr, 11
	.set _ZL10tri_kernelIfLb1ELi1EEvPKT_PS0_llllllllllll.num_agpr, 0
	.set _ZL10tri_kernelIfLb1ELi1EEvPKT_PS0_llllllllllll.numbered_sgpr, 36
	.set _ZL10tri_kernelIfLb1ELi1EEvPKT_PS0_llllllllllll.num_named_barrier, 0
	.set _ZL10tri_kernelIfLb1ELi1EEvPKT_PS0_llllllllllll.private_seg_size, 0
	.set _ZL10tri_kernelIfLb1ELi1EEvPKT_PS0_llllllllllll.uses_vcc, 1
	.set _ZL10tri_kernelIfLb1ELi1EEvPKT_PS0_llllllllllll.uses_flat_scratch, 0
	.set _ZL10tri_kernelIfLb1ELi1EEvPKT_PS0_llllllllllll.has_dyn_sized_stack, 0
	.set _ZL10tri_kernelIfLb1ELi1EEvPKT_PS0_llllllllllll.has_recursion, 0
	.set _ZL10tri_kernelIfLb1ELi1EEvPKT_PS0_llllllllllll.has_indirect_call, 0
	.section	.AMDGPU.csdata,"",@progbits
; Kernel info:
; codeLenInByte = 660
; TotalNumSgprs: 40
; NumVgprs: 11
; ScratchSize: 0
; MemoryBound: 0
; FloatMode: 240
; IeeeMode: 1
; LDSByteSize: 0 bytes/workgroup (compile time only)
; SGPRBlocks: 4
; VGPRBlocks: 2
; NumSGPRsForWavesPerEU: 40
; NumVGPRsForWavesPerEU: 11
; Occupancy: 10
; WaveLimiterHint : 0
; COMPUTE_PGM_RSRC2:SCRATCH_EN: 0
; COMPUTE_PGM_RSRC2:USER_SGPR: 6
; COMPUTE_PGM_RSRC2:TRAP_HANDLER: 0
; COMPUTE_PGM_RSRC2:TGID_X_EN: 1
; COMPUTE_PGM_RSRC2:TGID_Y_EN: 1
; COMPUTE_PGM_RSRC2:TGID_Z_EN: 1
; COMPUTE_PGM_RSRC2:TIDIG_COMP_CNT: 0
	.section	.text._ZL10tri_kernelIfLb0ELi0EEvPKT_PS0_llllllllllll,"axG",@progbits,_ZL10tri_kernelIfLb0ELi0EEvPKT_PS0_llllllllllll,comdat
	.globl	_ZL10tri_kernelIfLb0ELi0EEvPKT_PS0_llllllllllll ; -- Begin function _ZL10tri_kernelIfLb0ELi0EEvPKT_PS0_llllllllllll
	.p2align	8
	.type	_ZL10tri_kernelIfLb0ELi0EEvPKT_PS0_llllllllllll,@function
_ZL10tri_kernelIfLb0ELi0EEvPKT_PS0_llllllllllll: ; @_ZL10tri_kernelIfLb0ELi0EEvPKT_PS0_llllllllllll
; %bb.0:
	s_load_dwordx8 s[12:19], s[4:5], 0x0
	s_load_dwordx4 s[0:3], s[4:5], 0x20
	s_mov_b32 s9, 0
	v_mov_b32_e32 v1, s8
	s_mov_b32 s10, s7
	v_mov_b32_e32 v2, s9
	s_mov_b32 s11, s9
	s_waitcnt lgkmcnt(0)
	v_cmp_le_i64_e32 vcc, s[2:3], v[1:2]
	v_mov_b32_e32 v1, s10
	v_mov_b32_e32 v2, s11
	s_mov_b32 s7, s9
	v_cmp_le_i64_e64 s[0:1], s[0:1], v[1:2]
	v_mov_b32_e32 v1, s6
	v_mov_b32_e32 v2, s7
	v_cmp_le_i64_e64 s[2:3], s[18:19], v[1:2]
	s_or_b64 s[0:1], s[0:1], vcc
	s_or_b64 s[0:1], s[2:3], s[0:1]
	s_and_b64 vcc, exec, s[0:1]
	s_cbranch_vccnz .LBB2_7
; %bb.1:
	s_load_dwordx2 s[0:1], s[4:5], 0x68
	s_load_dwordx4 s[20:23], s[4:5], 0x58
	v_mov_b32_e32 v1, 0
	v_cmp_gt_u32_e32 vcc, s6, v0
	v_lshlrev_b32_e32 v6, 2, v0
	s_waitcnt lgkmcnt(0)
	s_mul_i32 s26, s1, s8
	s_mul_hi_u32 s27, s0, s8
	s_mul_i32 s24, s0, s8
	s_mul_i32 s9, s23, s10
	s_mul_hi_u32 s11, s22, s10
	s_mul_i32 s18, s22, s10
	s_and_saveexec_b64 s[2:3], vcc
	s_cbranch_execz .LBB2_4
; %bb.2:
	s_load_dword s28, s[4:5], 0x7c
	s_add_i32 s25, s27, s26
	s_add_i32 s19, s11, s9
	s_lshl_b64 s[0:1], s[24:25], 2
	s_lshl_b64 s[22:23], s[18:19], 2
	s_waitcnt lgkmcnt(0)
	s_and_b32 s19, s28, 0xffff
	s_add_u32 s22, s0, s22
	s_addc_u32 s23, s1, s23
	s_mul_i32 s0, s21, s6
	s_mul_hi_u32 s1, s20, s6
	s_add_i32 s1, s1, s0
	s_mul_i32 s0, s20, s6
	s_lshl_b64 s[0:1], s[0:1], 2
	s_add_u32 s0, s22, s0
	s_addc_u32 s1, s23, s1
	s_add_u32 s0, s14, s0
	s_addc_u32 s1, s15, s1
	v_mov_b32_e32 v3, s1
	v_add_co_u32_e32 v2, vcc, s0, v6
	v_mov_b32_e32 v5, v1
	v_addc_co_u32_e32 v3, vcc, 0, v3, vcc
	s_lshl_b32 s25, s19, 2
	s_mov_b64 s[22:23], 0
	v_mov_b32_e32 v4, v0
.LBB2_3:                                ; =>This Inner Loop Header: Depth=1
	v_add_co_u32_e32 v4, vcc, s19, v4
	v_addc_co_u32_e32 v5, vcc, 0, v5, vcc
	v_cmp_le_u64_e64 s[0:1], s[6:7], v[4:5]
	global_store_dword v[2:3], v1, off
	v_add_co_u32_e32 v2, vcc, s25, v2
	s_or_b64 s[22:23], s[0:1], s[22:23]
	v_addc_co_u32_e32 v3, vcc, 0, v3, vcc
	s_andn2_b64 exec, exec, s[22:23]
	s_cbranch_execnz .LBB2_3
.LBB2_4:
	s_or_b64 exec, exec, s[2:3]
	v_add_co_u32_e32 v0, vcc, s6, v0
	v_addc_co_u32_e64 v1, s[0:1], 0, 0, vcc
	v_cmp_gt_i64_e32 vcc, s[16:17], v[0:1]
	s_and_saveexec_b64 s[0:1], vcc
	s_cbranch_execz .LBB2_7
; %bb.5:
	s_load_dword s7, s[4:5], 0x7c
	s_load_dwordx4 s[0:3], s[4:5], 0x38
	s_load_dwordx2 s[22:23], s[4:5], 0x48
	s_add_i32 s25, s27, s26
	s_add_i32 s19, s11, s9
	s_lshl_b64 s[4:5], s[24:25], 2
	s_waitcnt lgkmcnt(0)
	s_and_b32 s7, s7, 0xffff
	s_lshl_b64 s[18:19], s[18:19], 2
	s_add_u32 s9, s4, s18
	s_addc_u32 s11, s5, s19
	s_lshl_b64 s[4:5], s[20:21], 2
	s_add_u32 s4, s4, 4
	s_addc_u32 s5, s5, 0
	s_mul_i32 s5, s5, s6
	s_mul_hi_u32 s18, s4, s6
	s_add_i32 s18, s18, s5
	s_mul_i32 s4, s4, s6
	s_add_u32 s4, s9, s4
	s_addc_u32 s5, s11, s18
	s_add_u32 s4, s14, s4
	s_addc_u32 s5, s15, s5
	v_mov_b32_e32 v3, s5
	v_add_co_u32_e32 v2, vcc, s4, v6
	s_mul_i32 s4, s23, s8
	s_mul_hi_u32 s5, s22, s8
	s_add_i32 s5, s5, s4
	s_mul_i32 s4, s22, s8
	s_mul_i32 s3, s3, s10
	s_mul_hi_u32 s8, s2, s10
	s_add_i32 s3, s8, s3
	s_mul_i32 s2, s2, s10
	s_lshl_b32 s9, s7, 2
	s_lshl_b64 s[4:5], s[4:5], 2
	s_lshl_b64 s[2:3], s[2:3], 2
	s_add_u32 s2, s4, s2
	s_addc_u32 s3, s5, s3
	s_lshl_b64 s[0:1], s[0:1], 2
	s_add_u32 s0, s0, 4
	s_addc_u32 s1, s1, 0
	s_mul_i32 s1, s1, s6
	s_mul_hi_u32 s4, s0, s6
	s_add_i32 s4, s4, s1
	s_mul_i32 s0, s0, s6
	s_add_u32 s0, s2, s0
	s_addc_u32 s1, s3, s4
	s_add_u32 s0, s12, s0
	v_addc_co_u32_e32 v3, vcc, 0, v3, vcc
	s_addc_u32 s1, s13, s1
	v_mov_b32_e32 v5, s1
	v_add_co_u32_e32 v4, vcc, s0, v6
	v_addc_co_u32_e32 v5, vcc, 0, v5, vcc
	s_mov_b64 s[2:3], 0
	s_mov_b64 s[4:5], 0
.LBB2_6:                                ; =>This Inner Loop Header: Depth=1
	v_mov_b32_e32 v8, s5
	v_add_co_u32_e32 v6, vcc, s4, v4
	v_addc_co_u32_e32 v7, vcc, v5, v8, vcc
	global_load_dword v9, v[6:7], off
	v_add_co_u32_e32 v6, vcc, s4, v2
	v_add_co_u32_e64 v0, s[0:1], s7, v0
	v_addc_co_u32_e64 v1, s[0:1], 0, v1, s[0:1]
	v_addc_co_u32_e32 v7, vcc, v3, v8, vcc
	s_add_u32 s4, s4, s9
	v_cmp_le_i64_e32 vcc, s[16:17], v[0:1]
	s_addc_u32 s5, s5, 0
	s_or_b64 s[2:3], vcc, s[2:3]
	s_waitcnt vmcnt(0)
	global_store_dword v[6:7], v9, off
	s_andn2_b64 exec, exec, s[2:3]
	s_cbranch_execnz .LBB2_6
.LBB2_7:
	s_endpgm
	.section	.rodata,"a",@progbits
	.p2align	6, 0x0
	.amdhsa_kernel _ZL10tri_kernelIfLb0ELi0EEvPKT_PS0_llllllllllll
		.amdhsa_group_segment_fixed_size 0
		.amdhsa_private_segment_fixed_size 0
		.amdhsa_kernarg_size 368
		.amdhsa_user_sgpr_count 6
		.amdhsa_user_sgpr_private_segment_buffer 1
		.amdhsa_user_sgpr_dispatch_ptr 0
		.amdhsa_user_sgpr_queue_ptr 0
		.amdhsa_user_sgpr_kernarg_segment_ptr 1
		.amdhsa_user_sgpr_dispatch_id 0
		.amdhsa_user_sgpr_flat_scratch_init 0
		.amdhsa_user_sgpr_private_segment_size 0
		.amdhsa_uses_dynamic_stack 0
		.amdhsa_system_sgpr_private_segment_wavefront_offset 0
		.amdhsa_system_sgpr_workgroup_id_x 1
		.amdhsa_system_sgpr_workgroup_id_y 1
		.amdhsa_system_sgpr_workgroup_id_z 1
		.amdhsa_system_sgpr_workgroup_info 0
		.amdhsa_system_vgpr_workitem_id 0
		.amdhsa_next_free_vgpr 10
		.amdhsa_next_free_sgpr 29
		.amdhsa_reserve_vcc 1
		.amdhsa_reserve_flat_scratch 0
		.amdhsa_float_round_mode_32 0
		.amdhsa_float_round_mode_16_64 0
		.amdhsa_float_denorm_mode_32 3
		.amdhsa_float_denorm_mode_16_64 3
		.amdhsa_dx10_clamp 1
		.amdhsa_ieee_mode 1
		.amdhsa_fp16_overflow 0
		.amdhsa_exception_fp_ieee_invalid_op 0
		.amdhsa_exception_fp_denorm_src 0
		.amdhsa_exception_fp_ieee_div_zero 0
		.amdhsa_exception_fp_ieee_overflow 0
		.amdhsa_exception_fp_ieee_underflow 0
		.amdhsa_exception_fp_ieee_inexact 0
		.amdhsa_exception_int_div_zero 0
	.end_amdhsa_kernel
	.section	.text._ZL10tri_kernelIfLb0ELi0EEvPKT_PS0_llllllllllll,"axG",@progbits,_ZL10tri_kernelIfLb0ELi0EEvPKT_PS0_llllllllllll,comdat
.Lfunc_end2:
	.size	_ZL10tri_kernelIfLb0ELi0EEvPKT_PS0_llllllllllll, .Lfunc_end2-_ZL10tri_kernelIfLb0ELi0EEvPKT_PS0_llllllllllll
                                        ; -- End function
	.set _ZL10tri_kernelIfLb0ELi0EEvPKT_PS0_llllllllllll.num_vgpr, 10
	.set _ZL10tri_kernelIfLb0ELi0EEvPKT_PS0_llllllllllll.num_agpr, 0
	.set _ZL10tri_kernelIfLb0ELi0EEvPKT_PS0_llllllllllll.numbered_sgpr, 29
	.set _ZL10tri_kernelIfLb0ELi0EEvPKT_PS0_llllllllllll.num_named_barrier, 0
	.set _ZL10tri_kernelIfLb0ELi0EEvPKT_PS0_llllllllllll.private_seg_size, 0
	.set _ZL10tri_kernelIfLb0ELi0EEvPKT_PS0_llllllllllll.uses_vcc, 1
	.set _ZL10tri_kernelIfLb0ELi0EEvPKT_PS0_llllllllllll.uses_flat_scratch, 0
	.set _ZL10tri_kernelIfLb0ELi0EEvPKT_PS0_llllllllllll.has_dyn_sized_stack, 0
	.set _ZL10tri_kernelIfLb0ELi0EEvPKT_PS0_llllllllllll.has_recursion, 0
	.set _ZL10tri_kernelIfLb0ELi0EEvPKT_PS0_llllllllllll.has_indirect_call, 0
	.section	.AMDGPU.csdata,"",@progbits
; Kernel info:
; codeLenInByte = 656
; TotalNumSgprs: 33
; NumVgprs: 10
; ScratchSize: 0
; MemoryBound: 0
; FloatMode: 240
; IeeeMode: 1
; LDSByteSize: 0 bytes/workgroup (compile time only)
; SGPRBlocks: 4
; VGPRBlocks: 2
; NumSGPRsForWavesPerEU: 33
; NumVGPRsForWavesPerEU: 10
; Occupancy: 10
; WaveLimiterHint : 0
; COMPUTE_PGM_RSRC2:SCRATCH_EN: 0
; COMPUTE_PGM_RSRC2:USER_SGPR: 6
; COMPUTE_PGM_RSRC2:TRAP_HANDLER: 0
; COMPUTE_PGM_RSRC2:TGID_X_EN: 1
; COMPUTE_PGM_RSRC2:TGID_Y_EN: 1
; COMPUTE_PGM_RSRC2:TGID_Z_EN: 1
; COMPUTE_PGM_RSRC2:TIDIG_COMP_CNT: 0
	.section	.text._ZL10tri_kernelIfLb0ELi1EEvPKT_PS0_llllllllllll,"axG",@progbits,_ZL10tri_kernelIfLb0ELi1EEvPKT_PS0_llllllllllll,comdat
	.globl	_ZL10tri_kernelIfLb0ELi1EEvPKT_PS0_llllllllllll ; -- Begin function _ZL10tri_kernelIfLb0ELi1EEvPKT_PS0_llllllllllll
	.p2align	8
	.type	_ZL10tri_kernelIfLb0ELi1EEvPKT_PS0_llllllllllll,@function
_ZL10tri_kernelIfLb0ELi1EEvPKT_PS0_llllllllllll: ; @_ZL10tri_kernelIfLb0ELi1EEvPKT_PS0_llllllllllll
; %bb.0:
	s_load_dwordx8 s[12:19], s[4:5], 0x0
	s_load_dwordx4 s[0:3], s[4:5], 0x20
	s_mov_b32 s9, 0
	v_mov_b32_e32 v1, s8
	s_mov_b32 s10, s7
	v_mov_b32_e32 v2, s9
	s_mov_b32 s11, s9
	s_waitcnt lgkmcnt(0)
	v_cmp_le_i64_e32 vcc, s[2:3], v[1:2]
	v_mov_b32_e32 v1, s10
	v_mov_b32_e32 v2, s11
	s_mov_b32 s7, s9
	v_cmp_le_i64_e64 s[0:1], s[0:1], v[1:2]
	v_mov_b32_e32 v1, s6
	v_mov_b32_e32 v2, s7
	v_cmp_le_i64_e64 s[2:3], s[18:19], v[1:2]
	s_or_b64 s[0:1], s[0:1], vcc
	s_or_b64 s[0:1], s[2:3], s[0:1]
	s_and_b64 vcc, exec, s[0:1]
	s_cbranch_vccnz .LBB3_7
; %bb.1:
	s_load_dwordx4 s[20:23], s[4:5], 0x58
	s_load_dwordx2 s[0:1], s[4:5], 0x68
	v_mov_b32_e32 v1, 0
	v_cmp_ge_u32_e32 vcc, s6, v0
	s_waitcnt lgkmcnt(0)
	s_mul_i32 s2, s23, s10
	s_mul_hi_u32 s3, s22, s10
	s_mul_i32 s1, s1, s8
	s_add_i32 s19, s3, s2
	s_mul_hi_u32 s2, s0, s8
	s_mul_i32 s18, s22, s10
	s_add_i32 s23, s2, s1
	s_mul_i32 s22, s0, s8
	s_and_saveexec_b64 s[2:3], vcc
	s_cbranch_execz .LBB3_4
; %bb.2:
	s_load_dword s9, s[4:5], 0x7c
	s_lshl_b64 s[0:1], s[22:23], 2
	s_lshl_b64 s[24:25], s[18:19], 2
	s_mul_i32 s11, s21, s6
	s_mul_hi_u32 s26, s20, s6
	s_waitcnt lgkmcnt(0)
	s_and_b32 s9, s9, 0xffff
	s_add_u32 s24, s0, s24
	s_addc_u32 s25, s1, s25
	s_add_i32 s1, s26, s11
	s_mul_i32 s0, s20, s6
	s_lshl_b64 s[0:1], s[0:1], 2
	s_add_u32 s0, s24, s0
	s_addc_u32 s1, s25, s1
	s_add_u32 s0, s14, s0
	v_lshlrev_b32_e32 v2, 2, v0
	s_addc_u32 s1, s15, s1
	v_mov_b32_e32 v3, s1
	v_add_co_u32_e32 v2, vcc, s0, v2
	v_mov_b32_e32 v5, v1
	v_addc_co_u32_e32 v3, vcc, 0, v3, vcc
	s_lshl_b32 s11, s9, 2
	s_mov_b64 s[24:25], 0
	v_mov_b32_e32 v4, v0
.LBB3_3:                                ; =>This Inner Loop Header: Depth=1
	v_add_co_u32_e32 v4, vcc, s9, v4
	v_addc_co_u32_e32 v5, vcc, 0, v5, vcc
	v_cmp_lt_u64_e64 s[0:1], s[6:7], v[4:5]
	global_store_dword v[2:3], v1, off
	v_add_co_u32_e32 v2, vcc, s11, v2
	s_or_b64 s[24:25], s[0:1], s[24:25]
	v_addc_co_u32_e32 v3, vcc, 0, v3, vcc
	s_andn2_b64 exec, exec, s[24:25]
	s_cbranch_execnz .LBB3_3
.LBB3_4:
	s_or_b64 exec, exec, s[2:3]
	s_add_u32 s0, s6, 1
	s_addc_u32 s1, 0, 0
	v_mov_b32_e32 v2, s1
	v_add_co_u32_e32 v1, vcc, s0, v0
	v_addc_co_u32_e32 v2, vcc, 0, v2, vcc
	v_cmp_gt_i64_e32 vcc, s[16:17], v[1:2]
	s_and_saveexec_b64 s[0:1], vcc
	s_cbranch_execz .LBB3_7
; %bb.5:
	s_load_dwordx4 s[0:3], s[4:5], 0x38
	s_load_dwordx2 s[24:25], s[4:5], 0x48
	s_load_dword s7, s[4:5], 0x7c
	v_mov_b32_e32 v5, s15
	v_mov_b32_e32 v7, s13
	s_waitcnt lgkmcnt(0)
	s_mul_i32 s3, s3, s10
	s_mul_hi_u32 s4, s2, s10
	s_add_i32 s4, s4, s3
	s_mul_i32 s3, s25, s8
	s_mul_hi_u32 s5, s24, s8
	s_add_i32 s5, s5, s3
	s_and_b32 s7, s7, 0xffff
	s_mul_i32 s3, s24, s8
	s_add_u32 s8, s22, s18
	s_addc_u32 s9, s23, s19
	s_mul_i32 s2, s2, s10
	s_add_u32 s10, s20, 1
	s_addc_u32 s11, s21, 0
	s_mul_i32 s11, s11, s6
	s_mul_hi_u32 s18, s10, s6
	s_add_i32 s18, s18, s11
	s_mul_i32 s10, s10, s6
	s_add_u32 s8, s8, s10
	s_addc_u32 s9, s9, s18
	v_add_co_u32_e32 v3, vcc, s8, v0
	s_lshl_b32 s8, s7, 2
	s_add_u32 s2, s3, s2
	s_addc_u32 s3, s5, s4
	v_mov_b32_e32 v4, s9
	s_add_u32 s0, s0, 1
	v_addc_co_u32_e32 v4, vcc, 0, v4, vcc
	s_addc_u32 s1, s1, 0
	v_lshlrev_b64 v[3:4], 2, v[3:4]
	s_mul_i32 s1, s1, s6
	s_mul_hi_u32 s4, s0, s6
	s_add_i32 s4, s4, s1
	s_mul_i32 s0, s0, s6
	v_add_co_u32_e32 v3, vcc, s14, v3
	s_add_u32 s0, s2, s0
	v_addc_co_u32_e32 v4, vcc, v5, v4, vcc
	s_addc_u32 s1, s3, s4
	v_mov_b32_e32 v6, s1
	v_add_co_u32_e32 v5, vcc, s0, v0
	v_addc_co_u32_e32 v6, vcc, 0, v6, vcc
	v_lshlrev_b64 v[5:6], 2, v[5:6]
	s_mov_b64 s[2:3], 4
	v_add_co_u32_e32 v0, vcc, s12, v5
	v_addc_co_u32_e32 v5, vcc, v7, v6, vcc
	s_mov_b64 s[4:5], 0
.LBB3_6:                                ; =>This Inner Loop Header: Depth=1
	v_mov_b32_e32 v8, s3
	v_add_co_u32_e32 v6, vcc, s2, v0
	v_addc_co_u32_e32 v7, vcc, v5, v8, vcc
	global_load_dword v9, v[6:7], off
	v_add_co_u32_e32 v6, vcc, s2, v3
	v_add_co_u32_e64 v1, s[0:1], s7, v1
	v_addc_co_u32_e64 v2, s[0:1], 0, v2, s[0:1]
	v_addc_co_u32_e32 v7, vcc, v4, v8, vcc
	s_add_u32 s2, s2, s8
	v_cmp_le_i64_e32 vcc, s[16:17], v[1:2]
	s_addc_u32 s3, s3, 0
	s_or_b64 s[4:5], vcc, s[4:5]
	s_waitcnt vmcnt(0)
	global_store_dword v[6:7], v9, off
	s_andn2_b64 exec, exec, s[4:5]
	s_cbranch_execnz .LBB3_6
.LBB3_7:
	s_endpgm
	.section	.rodata,"a",@progbits
	.p2align	6, 0x0
	.amdhsa_kernel _ZL10tri_kernelIfLb0ELi1EEvPKT_PS0_llllllllllll
		.amdhsa_group_segment_fixed_size 0
		.amdhsa_private_segment_fixed_size 0
		.amdhsa_kernarg_size 368
		.amdhsa_user_sgpr_count 6
		.amdhsa_user_sgpr_private_segment_buffer 1
		.amdhsa_user_sgpr_dispatch_ptr 0
		.amdhsa_user_sgpr_queue_ptr 0
		.amdhsa_user_sgpr_kernarg_segment_ptr 1
		.amdhsa_user_sgpr_dispatch_id 0
		.amdhsa_user_sgpr_flat_scratch_init 0
		.amdhsa_user_sgpr_private_segment_size 0
		.amdhsa_uses_dynamic_stack 0
		.amdhsa_system_sgpr_private_segment_wavefront_offset 0
		.amdhsa_system_sgpr_workgroup_id_x 1
		.amdhsa_system_sgpr_workgroup_id_y 1
		.amdhsa_system_sgpr_workgroup_id_z 1
		.amdhsa_system_sgpr_workgroup_info 0
		.amdhsa_system_vgpr_workitem_id 0
		.amdhsa_next_free_vgpr 10
		.amdhsa_next_free_sgpr 27
		.amdhsa_reserve_vcc 1
		.amdhsa_reserve_flat_scratch 0
		.amdhsa_float_round_mode_32 0
		.amdhsa_float_round_mode_16_64 0
		.amdhsa_float_denorm_mode_32 3
		.amdhsa_float_denorm_mode_16_64 3
		.amdhsa_dx10_clamp 1
		.amdhsa_ieee_mode 1
		.amdhsa_fp16_overflow 0
		.amdhsa_exception_fp_ieee_invalid_op 0
		.amdhsa_exception_fp_denorm_src 0
		.amdhsa_exception_fp_ieee_div_zero 0
		.amdhsa_exception_fp_ieee_overflow 0
		.amdhsa_exception_fp_ieee_underflow 0
		.amdhsa_exception_fp_ieee_inexact 0
		.amdhsa_exception_int_div_zero 0
	.end_amdhsa_kernel
	.section	.text._ZL10tri_kernelIfLb0ELi1EEvPKT_PS0_llllllllllll,"axG",@progbits,_ZL10tri_kernelIfLb0ELi1EEvPKT_PS0_llllllllllll,comdat
.Lfunc_end3:
	.size	_ZL10tri_kernelIfLb0ELi1EEvPKT_PS0_llllllllllll, .Lfunc_end3-_ZL10tri_kernelIfLb0ELi1EEvPKT_PS0_llllllllllll
                                        ; -- End function
	.set _ZL10tri_kernelIfLb0ELi1EEvPKT_PS0_llllllllllll.num_vgpr, 10
	.set _ZL10tri_kernelIfLb0ELi1EEvPKT_PS0_llllllllllll.num_agpr, 0
	.set _ZL10tri_kernelIfLb0ELi1EEvPKT_PS0_llllllllllll.numbered_sgpr, 27
	.set _ZL10tri_kernelIfLb0ELi1EEvPKT_PS0_llllllllllll.num_named_barrier, 0
	.set _ZL10tri_kernelIfLb0ELi1EEvPKT_PS0_llllllllllll.private_seg_size, 0
	.set _ZL10tri_kernelIfLb0ELi1EEvPKT_PS0_llllllllllll.uses_vcc, 1
	.set _ZL10tri_kernelIfLb0ELi1EEvPKT_PS0_llllllllllll.uses_flat_scratch, 0
	.set _ZL10tri_kernelIfLb0ELi1EEvPKT_PS0_llllllllllll.has_dyn_sized_stack, 0
	.set _ZL10tri_kernelIfLb0ELi1EEvPKT_PS0_llllllllllll.has_recursion, 0
	.set _ZL10tri_kernelIfLb0ELi1EEvPKT_PS0_llllllllllll.has_indirect_call, 0
	.section	.AMDGPU.csdata,"",@progbits
; Kernel info:
; codeLenInByte = 656
; TotalNumSgprs: 31
; NumVgprs: 10
; ScratchSize: 0
; MemoryBound: 0
; FloatMode: 240
; IeeeMode: 1
; LDSByteSize: 0 bytes/workgroup (compile time only)
; SGPRBlocks: 3
; VGPRBlocks: 2
; NumSGPRsForWavesPerEU: 31
; NumVGPRsForWavesPerEU: 10
; Occupancy: 10
; WaveLimiterHint : 0
; COMPUTE_PGM_RSRC2:SCRATCH_EN: 0
; COMPUTE_PGM_RSRC2:USER_SGPR: 6
; COMPUTE_PGM_RSRC2:TRAP_HANDLER: 0
; COMPUTE_PGM_RSRC2:TGID_X_EN: 1
; COMPUTE_PGM_RSRC2:TGID_Y_EN: 1
; COMPUTE_PGM_RSRC2:TGID_Z_EN: 1
; COMPUTE_PGM_RSRC2:TIDIG_COMP_CNT: 0
	.section	.text._ZL10tri_kernelI6__halfLb1ELi0EEvPKT_PS1_llllllllllll,"axG",@progbits,_ZL10tri_kernelI6__halfLb1ELi0EEvPKT_PS1_llllllllllll,comdat
	.globl	_ZL10tri_kernelI6__halfLb1ELi0EEvPKT_PS1_llllllllllll ; -- Begin function _ZL10tri_kernelI6__halfLb1ELi0EEvPKT_PS1_llllllllllll
	.p2align	8
	.type	_ZL10tri_kernelI6__halfLb1ELi0EEvPKT_PS1_llllllllllll,@function
_ZL10tri_kernelI6__halfLb1ELi0EEvPKT_PS1_llllllllllll: ; @_ZL10tri_kernelI6__halfLb1ELi0EEvPKT_PS1_llllllllllll
; %bb.0:
	s_load_dwordx8 s[12:19], s[4:5], 0x0
	s_load_dwordx4 s[0:3], s[4:5], 0x20
	s_mov_b32 s9, 0
	v_mov_b32_e32 v1, s8
	s_mov_b32 s22, s7
	v_mov_b32_e32 v2, s9
	s_mov_b32 s23, s9
	s_waitcnt lgkmcnt(0)
	v_cmp_le_i64_e32 vcc, s[2:3], v[1:2]
	v_mov_b32_e32 v1, s22
	v_mov_b32_e32 v2, s23
	s_mov_b32 s7, s9
	v_cmp_le_i64_e64 s[0:1], s[0:1], v[1:2]
	v_mov_b32_e32 v1, s6
	v_mov_b32_e32 v2, s7
	v_cmp_le_i64_e64 s[2:3], s[18:19], v[1:2]
	s_or_b64 s[0:1], s[0:1], vcc
	s_or_b64 s[0:1], s[2:3], s[0:1]
	s_and_b64 vcc, exec, s[0:1]
	s_cbranch_vccnz .LBB4_12
; %bb.1:
	s_load_dwordx4 s[24:27], s[4:5], 0x58
	s_load_dwordx2 s[0:1], s[4:5], 0x68
	v_mov_b32_e32 v1, 0
	v_cmp_gt_u32_e32 vcc, s6, v0
	s_waitcnt lgkmcnt(0)
	s_mul_i32 s3, s25, s6
	s_mul_hi_u32 s9, s24, s6
	s_mul_i32 s10, s27, s22
	s_add_i32 s3, s9, s3
	s_mul_hi_u32 s9, s26, s22
	s_add_i32 s11, s9, s10
	s_mul_i32 s1, s1, s8
	s_mul_hi_u32 s9, s0, s8
	s_mul_i32 s2, s24, s6
	s_mul_i32 s10, s26, s22
	s_add_i32 s19, s9, s1
	s_mul_i32 s18, s0, s8
	s_and_saveexec_b64 s[20:21], vcc
	s_cbranch_execz .LBB4_4
; %bb.2:
	s_load_dword s9, s[4:5], 0x7c
	s_load_dwordx4 s[28:31], s[4:5], 0x38
	s_load_dwordx2 s[0:1], s[4:5], 0x48
	s_lshl_b64 s[24:25], s[18:19], 1
	s_lshl_b64 s[26:27], s[10:11], 1
	s_waitcnt lgkmcnt(0)
	s_and_b32 s23, s9, 0xffff
	s_add_u32 s9, s24, s26
	s_addc_u32 s26, s25, s27
	s_lshl_b64 s[24:25], s[2:3], 1
	s_add_u32 s9, s9, s24
	s_addc_u32 s24, s26, s25
	v_lshlrev_b32_e32 v2, 1, v0
	s_add_u32 s9, s14, s9
	v_add_co_u32_e32 v3, vcc, s9, v2
	s_mul_i32 s1, s1, s8
	s_mul_hi_u32 s9, s0, s8
	s_addc_u32 s24, s15, s24
	s_add_i32 s1, s9, s1
	s_mul_i32 s0, s0, s8
	s_mul_i32 s8, s31, s22
	s_mul_hi_u32 s9, s30, s22
	s_add_i32 s9, s9, s8
	s_mul_i32 s8, s30, s22
	v_mov_b32_e32 v4, s24
	s_lshl_b32 s24, s23, 1
	s_lshl_b64 s[0:1], s[0:1], 1
	s_lshl_b64 s[8:9], s[8:9], 1
	s_add_u32 s8, s0, s8
	s_addc_u32 s9, s1, s9
	s_mul_i32 s0, s29, s6
	s_mul_hi_u32 s1, s28, s6
	s_add_i32 s1, s1, s0
	s_mul_i32 s0, s28, s6
	s_lshl_b64 s[0:1], s[0:1], 1
	s_add_u32 s0, s8, s0
	s_addc_u32 s1, s9, s1
	s_add_u32 s0, s12, s0
	v_addc_co_u32_e32 v4, vcc, 0, v4, vcc
	s_addc_u32 s1, s13, s1
	v_mov_b32_e32 v6, s1
	v_add_co_u32_e32 v5, vcc, s0, v2
	v_mov_b32_e32 v2, v1
	v_addc_co_u32_e32 v6, vcc, 0, v6, vcc
	s_mov_b64 s[8:9], 0
	s_mov_b64 s[12:13], 0
	v_mov_b32_e32 v1, v0
.LBB4_3:                                ; =>This Inner Loop Header: Depth=1
	v_mov_b32_e32 v9, s13
	v_add_co_u32_e32 v7, vcc, s12, v5
	v_addc_co_u32_e32 v8, vcc, v6, v9, vcc
	global_load_ushort v10, v[7:8], off
	v_add_co_u32_e32 v7, vcc, s12, v3
	v_add_co_u32_e64 v1, s[0:1], s23, v1
	v_addc_co_u32_e64 v2, s[0:1], 0, v2, s[0:1]
	v_addc_co_u32_e32 v8, vcc, v4, v9, vcc
	s_add_u32 s12, s12, s24
	v_cmp_le_u64_e32 vcc, s[6:7], v[1:2]
	s_addc_u32 s13, s13, 0
	s_or_b64 s[8:9], vcc, s[8:9]
	s_waitcnt vmcnt(0)
	global_store_short v[7:8], v10, off
	s_andn2_b64 exec, exec, s[8:9]
	s_cbranch_execnz .LBB4_3
.LBB4_4:
	s_or_b64 exec, exec, s[20:21]
	v_add_co_u32_e32 v0, vcc, s6, v0
	v_addc_co_u32_e64 v1, s[0:1], 0, 0, vcc
	v_cmp_gt_i64_e32 vcc, s[16:17], v[0:1]
	s_and_saveexec_b64 s[0:1], vcc
	s_cbranch_execz .LBB4_12
; %bb.5:
	v_add_co_u32_e32 v2, vcc, 1, v0
	v_addc_co_u32_e32 v3, vcc, 0, v1, vcc
	s_load_dword s0, s[4:5], 0x7c
	v_cmp_gt_i64_e32 vcc, s[16:17], v[2:3]
	v_mov_b32_e32 v4, s17
	v_cndmask_b32_e32 v3, v3, v4, vcc
	v_mov_b32_e32 v4, s16
	v_cndmask_b32_e32 v2, v2, v4, vcc
	v_sub_co_u32_e32 v2, vcc, v2, v0
	s_waitcnt lgkmcnt(0)
	s_and_b32 s8, s0, 0xffff
	v_subb_co_u32_e32 v3, vcc, v3, v1, vcc
	v_cmp_lt_u64_e32 vcc, 1, v[2:3]
	s_cmp_eq_u32 s8, 1
	s_cselect_b64 s[0:1], -1, 0
	s_and_b64 s[6:7], vcc, s[0:1]
	s_mov_b64 s[0:1], -1
	s_and_saveexec_b64 s[4:5], s[6:7]
	s_cbranch_execz .LBB4_9
; %bb.6:
	s_lshl_b64 s[0:1], s[2:3], 1
	s_add_u32 s6, s14, s0
	s_addc_u32 s7, s15, s1
	s_lshl_b64 s[0:1], s[10:11], 1
	s_add_u32 s6, s6, s0
	s_addc_u32 s7, s7, s1
	s_lshl_b64 s[0:1], s[18:19], 1
	s_add_u32 s0, s6, s0
	v_lshlrev_b64 v[6:7], 1, v[0:1]
	s_addc_u32 s1, s7, s1
	v_mov_b32_e32 v5, v3
	v_mov_b32_e32 v8, s1
	v_add_co_u32_e32 v6, vcc, s0, v6
	v_and_b32_e32 v4, -2, v2
	v_addc_co_u32_e32 v7, vcc, v8, v7, vcc
	v_mov_b32_e32 v9, v5
	s_mov_b64 s[6:7], 0
	v_mov_b32_e32 v10, 0
	v_mov_b32_e32 v8, v4
.LBB4_7:                                ; =>This Inner Loop Header: Depth=1
	v_add_co_u32_e64 v8, s[0:1], -2, v8
	v_addc_co_u32_e64 v9, s[0:1], -1, v9, s[0:1]
	v_cmp_eq_u64_e64 s[0:1], 0, v[8:9]
	global_store_dword v[6:7], v10, off
	v_add_co_u32_e32 v6, vcc, 4, v6
	s_or_b64 s[6:7], s[0:1], s[6:7]
	v_addc_co_u32_e32 v7, vcc, 0, v7, vcc
	s_andn2_b64 exec, exec, s[6:7]
	s_cbranch_execnz .LBB4_7
; %bb.8:
	s_or_b64 exec, exec, s[6:7]
	v_cmp_ne_u64_e32 vcc, v[2:3], v[4:5]
	v_add_co_u32_e64 v0, s[0:1], v0, v4
	v_addc_co_u32_e64 v1, s[0:1], v1, v5, s[0:1]
	s_orn2_b64 s[0:1], vcc, exec
.LBB4_9:
	s_or_b64 exec, exec, s[4:5]
	s_and_b64 exec, exec, s[0:1]
	s_cbranch_execz .LBB4_12
; %bb.10:
	s_lshl_b64 s[0:1], s[18:19], 1
	s_lshl_b64 s[4:5], s[10:11], 1
	s_add_u32 s4, s0, s4
	s_addc_u32 s5, s1, s5
	s_lshl_b64 s[0:1], s[2:3], 1
	s_add_u32 s0, s4, s0
	s_addc_u32 s1, s5, s1
	v_lshlrev_b64 v[2:3], 1, v[0:1]
	s_add_u32 s0, s14, s0
	s_addc_u32 s1, s15, s1
	v_mov_b32_e32 v4, s1
	v_add_co_u32_e32 v2, vcc, s0, v2
	v_addc_co_u32_e32 v3, vcc, v4, v3, vcc
	s_lshl_b32 s4, s8, 1
	s_mov_b64 s[2:3], 0
	v_mov_b32_e32 v4, 0
.LBB4_11:                               ; =>This Inner Loop Header: Depth=1
	v_add_co_u32_e32 v0, vcc, s8, v0
	v_addc_co_u32_e32 v1, vcc, 0, v1, vcc
	v_cmp_le_i64_e64 s[0:1], s[16:17], v[0:1]
	global_store_short v[2:3], v4, off
	v_add_co_u32_e32 v2, vcc, s4, v2
	s_or_b64 s[2:3], s[0:1], s[2:3]
	v_addc_co_u32_e32 v3, vcc, 0, v3, vcc
	s_andn2_b64 exec, exec, s[2:3]
	s_cbranch_execnz .LBB4_11
.LBB4_12:
	s_endpgm
	.section	.rodata,"a",@progbits
	.p2align	6, 0x0
	.amdhsa_kernel _ZL10tri_kernelI6__halfLb1ELi0EEvPKT_PS1_llllllllllll
		.amdhsa_group_segment_fixed_size 0
		.amdhsa_private_segment_fixed_size 0
		.amdhsa_kernarg_size 368
		.amdhsa_user_sgpr_count 6
		.amdhsa_user_sgpr_private_segment_buffer 1
		.amdhsa_user_sgpr_dispatch_ptr 0
		.amdhsa_user_sgpr_queue_ptr 0
		.amdhsa_user_sgpr_kernarg_segment_ptr 1
		.amdhsa_user_sgpr_dispatch_id 0
		.amdhsa_user_sgpr_flat_scratch_init 0
		.amdhsa_user_sgpr_private_segment_size 0
		.amdhsa_uses_dynamic_stack 0
		.amdhsa_system_sgpr_private_segment_wavefront_offset 0
		.amdhsa_system_sgpr_workgroup_id_x 1
		.amdhsa_system_sgpr_workgroup_id_y 1
		.amdhsa_system_sgpr_workgroup_id_z 1
		.amdhsa_system_sgpr_workgroup_info 0
		.amdhsa_system_vgpr_workitem_id 0
		.amdhsa_next_free_vgpr 11
		.amdhsa_next_free_sgpr 32
		.amdhsa_reserve_vcc 1
		.amdhsa_reserve_flat_scratch 0
		.amdhsa_float_round_mode_32 0
		.amdhsa_float_round_mode_16_64 0
		.amdhsa_float_denorm_mode_32 3
		.amdhsa_float_denorm_mode_16_64 3
		.amdhsa_dx10_clamp 1
		.amdhsa_ieee_mode 1
		.amdhsa_fp16_overflow 0
		.amdhsa_exception_fp_ieee_invalid_op 0
		.amdhsa_exception_fp_denorm_src 0
		.amdhsa_exception_fp_ieee_div_zero 0
		.amdhsa_exception_fp_ieee_overflow 0
		.amdhsa_exception_fp_ieee_underflow 0
		.amdhsa_exception_fp_ieee_inexact 0
		.amdhsa_exception_int_div_zero 0
	.end_amdhsa_kernel
	.section	.text._ZL10tri_kernelI6__halfLb1ELi0EEvPKT_PS1_llllllllllll,"axG",@progbits,_ZL10tri_kernelI6__halfLb1ELi0EEvPKT_PS1_llllllllllll,comdat
.Lfunc_end4:
	.size	_ZL10tri_kernelI6__halfLb1ELi0EEvPKT_PS1_llllllllllll, .Lfunc_end4-_ZL10tri_kernelI6__halfLb1ELi0EEvPKT_PS1_llllllllllll
                                        ; -- End function
	.set _ZL10tri_kernelI6__halfLb1ELi0EEvPKT_PS1_llllllllllll.num_vgpr, 11
	.set _ZL10tri_kernelI6__halfLb1ELi0EEvPKT_PS1_llllllllllll.num_agpr, 0
	.set _ZL10tri_kernelI6__halfLb1ELi0EEvPKT_PS1_llllllllllll.numbered_sgpr, 32
	.set _ZL10tri_kernelI6__halfLb1ELi0EEvPKT_PS1_llllllllllll.num_named_barrier, 0
	.set _ZL10tri_kernelI6__halfLb1ELi0EEvPKT_PS1_llllllllllll.private_seg_size, 0
	.set _ZL10tri_kernelI6__halfLb1ELi0EEvPKT_PS1_llllllllllll.uses_vcc, 1
	.set _ZL10tri_kernelI6__halfLb1ELi0EEvPKT_PS1_llllllllllll.uses_flat_scratch, 0
	.set _ZL10tri_kernelI6__halfLb1ELi0EEvPKT_PS1_llllllllllll.has_dyn_sized_stack, 0
	.set _ZL10tri_kernelI6__halfLb1ELi0EEvPKT_PS1_llllllllllll.has_recursion, 0
	.set _ZL10tri_kernelI6__halfLb1ELi0EEvPKT_PS1_llllllllllll.has_indirect_call, 0
	.section	.AMDGPU.csdata,"",@progbits
; Kernel info:
; codeLenInByte = 864
; TotalNumSgprs: 36
; NumVgprs: 11
; ScratchSize: 0
; MemoryBound: 0
; FloatMode: 240
; IeeeMode: 1
; LDSByteSize: 0 bytes/workgroup (compile time only)
; SGPRBlocks: 4
; VGPRBlocks: 2
; NumSGPRsForWavesPerEU: 36
; NumVGPRsForWavesPerEU: 11
; Occupancy: 10
; WaveLimiterHint : 0
; COMPUTE_PGM_RSRC2:SCRATCH_EN: 0
; COMPUTE_PGM_RSRC2:USER_SGPR: 6
; COMPUTE_PGM_RSRC2:TRAP_HANDLER: 0
; COMPUTE_PGM_RSRC2:TGID_X_EN: 1
; COMPUTE_PGM_RSRC2:TGID_Y_EN: 1
; COMPUTE_PGM_RSRC2:TGID_Z_EN: 1
; COMPUTE_PGM_RSRC2:TIDIG_COMP_CNT: 0
	.section	.text._ZL10tri_kernelI6__halfLb1ELi1EEvPKT_PS1_llllllllllll,"axG",@progbits,_ZL10tri_kernelI6__halfLb1ELi1EEvPKT_PS1_llllllllllll,comdat
	.globl	_ZL10tri_kernelI6__halfLb1ELi1EEvPKT_PS1_llllllllllll ; -- Begin function _ZL10tri_kernelI6__halfLb1ELi1EEvPKT_PS1_llllllllllll
	.p2align	8
	.type	_ZL10tri_kernelI6__halfLb1ELi1EEvPKT_PS1_llllllllllll,@function
_ZL10tri_kernelI6__halfLb1ELi1EEvPKT_PS1_llllllllllll: ; @_ZL10tri_kernelI6__halfLb1ELi1EEvPKT_PS1_llllllllllll
; %bb.0:
	s_load_dwordx8 s[12:19], s[4:5], 0x0
	s_load_dwordx4 s[0:3], s[4:5], 0x20
	s_mov_b32 s9, 0
	v_mov_b32_e32 v1, s8
	s_mov_b32 s24, s7
	v_mov_b32_e32 v2, s9
	s_mov_b32 s25, s9
	s_waitcnt lgkmcnt(0)
	v_cmp_le_i64_e32 vcc, s[2:3], v[1:2]
	v_mov_b32_e32 v1, s24
	v_mov_b32_e32 v2, s25
	s_mov_b32 s7, s9
	v_cmp_le_i64_e64 s[0:1], s[0:1], v[1:2]
	v_mov_b32_e32 v1, s6
	v_mov_b32_e32 v2, s7
	v_cmp_le_i64_e64 s[2:3], s[18:19], v[1:2]
	s_or_b64 s[0:1], s[0:1], vcc
	s_or_b64 s[0:1], s[2:3], s[0:1]
	s_and_b64 vcc, exec, s[0:1]
	s_cbranch_vccnz .LBB5_14
; %bb.1:
	s_load_dwordx2 s[10:11], s[4:5], 0x68
	s_load_dwordx4 s[0:3], s[4:5], 0x58
	v_mov_b32_e32 v1, 0
	v_cmp_ge_u32_e32 vcc, s6, v0
	s_waitcnt lgkmcnt(0)
	s_mul_i32 s28, s11, s8
	s_mul_hi_u32 s30, s10, s8
	s_mul_i32 s20, s10, s8
	s_mul_i32 s27, s3, s24
	s_mul_hi_u32 s29, s2, s24
	s_mul_i32 s18, s2, s24
	;; [unrolled: 3-line block ×3, first 2 shown]
	s_and_saveexec_b64 s[22:23], vcc
	s_cbranch_execz .LBB5_4
; %bb.2:
	s_load_dword s9, s[4:5], 0x7c
	s_load_dwordx4 s[0:3], s[4:5], 0x38
	s_load_dwordx2 s[34:35], s[4:5], 0x48
	s_add_i32 s21, s30, s28
	s_add_i32 s19, s29, s27
	s_lshl_b64 s[36:37], s[20:21], 1
	s_waitcnt lgkmcnt(0)
	s_and_b32 s21, s9, 0xffff
	s_lshl_b64 s[38:39], s[18:19], 1
	s_add_u32 s9, s36, s38
	s_addc_u32 s19, s37, s39
	s_add_i32 s11, s26, s25
	s_lshl_b64 s[36:37], s[10:11], 1
	s_add_u32 s9, s9, s36
	s_addc_u32 s11, s19, s37
	v_lshlrev_b32_e32 v2, 1, v0
	s_add_u32 s9, s14, s9
	v_add_co_u32_e32 v3, vcc, s9, v2
	s_mul_i32 s9, s35, s8
	s_mul_hi_u32 s19, s34, s8
	s_addc_u32 s11, s15, s11
	s_add_i32 s9, s19, s9
	s_mul_i32 s3, s3, s24
	s_mul_hi_u32 s19, s2, s24
	s_mul_i32 s8, s34, s8
	s_add_i32 s3, s19, s3
	s_mul_i32 s2, s2, s24
	v_mov_b32_e32 v4, s11
	s_lshl_b32 s11, s21, 1
	s_lshl_b64 s[8:9], s[8:9], 1
	s_lshl_b64 s[2:3], s[2:3], 1
	s_add_u32 s2, s8, s2
	s_mul_i32 s1, s1, s6
	s_mul_hi_u32 s8, s0, s6
	s_addc_u32 s3, s9, s3
	s_add_i32 s1, s8, s1
	s_mul_i32 s0, s0, s6
	s_lshl_b64 s[0:1], s[0:1], 1
	s_add_u32 s0, s2, s0
	s_addc_u32 s1, s3, s1
	s_add_u32 s0, s12, s0
	v_addc_co_u32_e32 v4, vcc, 0, v4, vcc
	s_addc_u32 s1, s13, s1
	v_mov_b32_e32 v6, s1
	v_add_co_u32_e32 v5, vcc, s0, v2
	v_mov_b32_e32 v2, v1
	v_addc_co_u32_e32 v6, vcc, 0, v6, vcc
	s_mov_b64 s[2:3], 0
	s_mov_b64 s[8:9], 0
	v_mov_b32_e32 v1, v0
.LBB5_3:                                ; =>This Inner Loop Header: Depth=1
	v_mov_b32_e32 v9, s9
	v_add_co_u32_e32 v7, vcc, s8, v5
	v_addc_co_u32_e32 v8, vcc, v6, v9, vcc
	global_load_ushort v10, v[7:8], off
	v_add_co_u32_e32 v7, vcc, s8, v3
	v_add_co_u32_e64 v1, s[0:1], s21, v1
	v_addc_co_u32_e64 v2, s[0:1], 0, v2, s[0:1]
	v_addc_co_u32_e32 v8, vcc, v4, v9, vcc
	s_add_u32 s8, s8, s11
	v_cmp_lt_u64_e32 vcc, s[6:7], v[1:2]
	s_addc_u32 s9, s9, 0
	s_or_b64 s[2:3], vcc, s[2:3]
	s_waitcnt vmcnt(0)
	global_store_short v[7:8], v10, off
	s_andn2_b64 exec, exec, s[2:3]
	s_cbranch_execnz .LBB5_3
.LBB5_4:
	s_or_b64 exec, exec, s[22:23]
	s_add_u32 s0, s6, 1
	s_addc_u32 s1, 0, 0
	v_mov_b32_e32 v2, s1
	v_add_co_u32_e32 v1, vcc, s0, v0
	v_addc_co_u32_e32 v2, vcc, 0, v2, vcc
	v_cmp_gt_i64_e32 vcc, s[16:17], v[1:2]
	s_and_saveexec_b64 s[0:1], vcc
	s_cbranch_execz .LBB5_14
; %bb.5:
	v_add_co_u32_e32 v7, vcc, s6, v0
	v_addc_co_u32_e64 v8, s[0:1], 0, 0, vcc
	v_add_co_u32_e32 v3, vcc, 2, v7
	v_addc_co_u32_e32 v4, vcc, 0, v8, vcc
	s_load_dword s2, s[4:5], 0x7c
	v_cmp_gt_i64_e32 vcc, s[16:17], v[3:4]
	v_mov_b32_e32 v0, s17
	v_cndmask_b32_e32 v0, v4, v0, vcc
	v_mov_b32_e32 v4, s16
	v_cndmask_b32_e32 v3, v3, v4, vcc
	v_not_b32_e32 v5, v7
	v_not_b32_e32 v4, v8
	v_add_co_u32_e32 v3, vcc, v3, v5
	s_waitcnt lgkmcnt(0)
	s_and_b32 s12, s2, 0xffff
	v_addc_co_u32_e32 v4, vcc, v0, v4, vcc
	v_cmp_gt_u64_e32 vcc, 2, v[3:4]
	s_cmp_lg_u32 s12, 1
	s_cselect_b64 s[0:1], -1, 0
	s_or_b64 s[4:5], vcc, s[0:1]
	s_mov_b64 s[2:3], 0
	v_mov_b32_e32 v6, v4
                                        ; implicit-def: $sgpr0_sgpr1
	s_and_saveexec_b64 s[6:7], s[4:5]
	s_xor_b64 s[4:5], exec, s[6:7]
	s_cbranch_execz .LBB5_7
; %bb.6:
	s_add_i32 s21, s30, s28
	s_add_i32 s19, s29, s27
	s_lshl_b64 s[0:1], s[20:21], 1
	s_lshl_b64 s[6:7], s[18:19], 1
	s_add_u32 s6, s0, s6
	s_addc_u32 s7, s1, s7
	s_add_i32 s11, s26, s25
	s_lshl_b64 s[0:1], s[10:11], 1
	s_add_u32 s0, s6, s0
	s_mov_b64 s[2:3], exec
	s_addc_u32 s1, s7, s1
                                        ; implicit-def: $vgpr3_vgpr4
                                        ; implicit-def: $vgpr6
                                        ; implicit-def: $vgpr7_vgpr8
.LBB5_7:
	s_or_saveexec_b64 s[4:5], s[4:5]
	v_mov_b32_e32 v10, s1
	v_mov_b32_e32 v9, s0
	s_xor_b64 exec, exec, s[4:5]
	s_cbranch_execz .LBB5_11
; %bb.8:
	s_add_i32 s21, s30, s28
	s_add_i32 s19, s29, s27
	s_lshl_b64 s[0:1], s[20:21], 1
	s_lshl_b64 s[6:7], s[18:19], 1
	s_add_u32 s6, s0, s6
	s_addc_u32 s7, s1, s7
	s_add_i32 s11, s26, s25
	s_lshl_b64 s[0:1], s[10:11], 1
	s_add_u32 s6, s6, s0
	s_addc_u32 s7, s7, s1
	v_lshlrev_b64 v[7:8], 1, v[7:8]
	s_add_u32 s0, s14, s6
	s_addc_u32 s1, s15, s7
	v_mov_b32_e32 v0, s1
	v_add_co_u32_e32 v7, vcc, s0, v7
	v_addc_co_u32_e32 v0, vcc, v0, v8, vcc
	v_and_b32_e32 v5, -2, v3
	v_add_co_u32_e32 v7, vcc, 2, v7
	v_mov_b32_e32 v10, v6
	v_addc_co_u32_e32 v8, vcc, 0, v0, vcc
	s_mov_b64 s[8:9], 0
	v_mov_b32_e32 v0, 0
	v_mov_b32_e32 v9, v5
.LBB5_9:                                ; =>This Inner Loop Header: Depth=1
	v_add_co_u32_e64 v9, s[0:1], -2, v9
	v_addc_co_u32_e64 v10, s[0:1], -1, v10, s[0:1]
	v_cmp_eq_u64_e64 s[0:1], 0, v[9:10]
	global_store_dword v[7:8], v0, off
	v_add_co_u32_e32 v7, vcc, 4, v7
	s_or_b64 s[8:9], s[0:1], s[8:9]
	v_addc_co_u32_e32 v8, vcc, 0, v8, vcc
	s_andn2_b64 exec, exec, s[8:9]
	s_cbranch_execnz .LBB5_9
; %bb.10:
	s_or_b64 exec, exec, s[8:9]
	v_add_co_u32_e32 v1, vcc, v1, v5
	v_addc_co_u32_e32 v2, vcc, v2, v6, vcc
	v_cmp_ne_u64_e32 vcc, v[3:4], v[5:6]
	v_mov_b32_e32 v10, s7
	s_andn2_b64 s[0:1], s[2:3], exec
	s_and_b64 s[2:3], vcc, exec
	v_mov_b32_e32 v9, s6
	s_or_b64 s[2:3], s[0:1], s[2:3]
.LBB5_11:
	s_or_b64 exec, exec, s[4:5]
	s_and_b64 exec, exec, s[2:3]
	s_cbranch_execz .LBB5_14
; %bb.12:
	v_lshlrev_b64 v[3:4], 1, v[1:2]
	v_mov_b32_e32 v5, s15
	v_add_co_u32_e32 v0, vcc, v9, v3
	v_addc_co_u32_e32 v4, vcc, v10, v4, vcc
	v_add_co_u32_e32 v3, vcc, s14, v0
	v_addc_co_u32_e32 v4, vcc, v5, v4, vcc
	s_lshl_b32 s4, s12, 1
	s_mov_b64 s[2:3], 0
	v_mov_b32_e32 v0, 0
.LBB5_13:                               ; =>This Inner Loop Header: Depth=1
	v_add_co_u32_e32 v1, vcc, s12, v1
	v_addc_co_u32_e32 v2, vcc, 0, v2, vcc
	v_cmp_le_i64_e64 s[0:1], s[16:17], v[1:2]
	global_store_short v[3:4], v0, off
	v_add_co_u32_e32 v3, vcc, s4, v3
	s_or_b64 s[2:3], s[0:1], s[2:3]
	v_addc_co_u32_e32 v4, vcc, 0, v4, vcc
	s_andn2_b64 exec, exec, s[2:3]
	s_cbranch_execnz .LBB5_13
.LBB5_14:
	s_endpgm
	.section	.rodata,"a",@progbits
	.p2align	6, 0x0
	.amdhsa_kernel _ZL10tri_kernelI6__halfLb1ELi1EEvPKT_PS1_llllllllllll
		.amdhsa_group_segment_fixed_size 0
		.amdhsa_private_segment_fixed_size 0
		.amdhsa_kernarg_size 368
		.amdhsa_user_sgpr_count 6
		.amdhsa_user_sgpr_private_segment_buffer 1
		.amdhsa_user_sgpr_dispatch_ptr 0
		.amdhsa_user_sgpr_queue_ptr 0
		.amdhsa_user_sgpr_kernarg_segment_ptr 1
		.amdhsa_user_sgpr_dispatch_id 0
		.amdhsa_user_sgpr_flat_scratch_init 0
		.amdhsa_user_sgpr_private_segment_size 0
		.amdhsa_uses_dynamic_stack 0
		.amdhsa_system_sgpr_private_segment_wavefront_offset 0
		.amdhsa_system_sgpr_workgroup_id_x 1
		.amdhsa_system_sgpr_workgroup_id_y 1
		.amdhsa_system_sgpr_workgroup_id_z 1
		.amdhsa_system_sgpr_workgroup_info 0
		.amdhsa_system_vgpr_workitem_id 0
		.amdhsa_next_free_vgpr 11
		.amdhsa_next_free_sgpr 40
		.amdhsa_reserve_vcc 1
		.amdhsa_reserve_flat_scratch 0
		.amdhsa_float_round_mode_32 0
		.amdhsa_float_round_mode_16_64 0
		.amdhsa_float_denorm_mode_32 3
		.amdhsa_float_denorm_mode_16_64 3
		.amdhsa_dx10_clamp 1
		.amdhsa_ieee_mode 1
		.amdhsa_fp16_overflow 0
		.amdhsa_exception_fp_ieee_invalid_op 0
		.amdhsa_exception_fp_denorm_src 0
		.amdhsa_exception_fp_ieee_div_zero 0
		.amdhsa_exception_fp_ieee_overflow 0
		.amdhsa_exception_fp_ieee_underflow 0
		.amdhsa_exception_fp_ieee_inexact 0
		.amdhsa_exception_int_div_zero 0
	.end_amdhsa_kernel
	.section	.text._ZL10tri_kernelI6__halfLb1ELi1EEvPKT_PS1_llllllllllll,"axG",@progbits,_ZL10tri_kernelI6__halfLb1ELi1EEvPKT_PS1_llllllllllll,comdat
.Lfunc_end5:
	.size	_ZL10tri_kernelI6__halfLb1ELi1EEvPKT_PS1_llllllllllll, .Lfunc_end5-_ZL10tri_kernelI6__halfLb1ELi1EEvPKT_PS1_llllllllllll
                                        ; -- End function
	.set _ZL10tri_kernelI6__halfLb1ELi1EEvPKT_PS1_llllllllllll.num_vgpr, 11
	.set _ZL10tri_kernelI6__halfLb1ELi1EEvPKT_PS1_llllllllllll.num_agpr, 0
	.set _ZL10tri_kernelI6__halfLb1ELi1EEvPKT_PS1_llllllllllll.numbered_sgpr, 40
	.set _ZL10tri_kernelI6__halfLb1ELi1EEvPKT_PS1_llllllllllll.num_named_barrier, 0
	.set _ZL10tri_kernelI6__halfLb1ELi1EEvPKT_PS1_llllllllllll.private_seg_size, 0
	.set _ZL10tri_kernelI6__halfLb1ELi1EEvPKT_PS1_llllllllllll.uses_vcc, 1
	.set _ZL10tri_kernelI6__halfLb1ELi1EEvPKT_PS1_llllllllllll.uses_flat_scratch, 0
	.set _ZL10tri_kernelI6__halfLb1ELi1EEvPKT_PS1_llllllllllll.has_dyn_sized_stack, 0
	.set _ZL10tri_kernelI6__halfLb1ELi1EEvPKT_PS1_llllllllllll.has_recursion, 0
	.set _ZL10tri_kernelI6__halfLb1ELi1EEvPKT_PS1_llllllllllll.has_indirect_call, 0
	.section	.AMDGPU.csdata,"",@progbits
; Kernel info:
; codeLenInByte = 960
; TotalNumSgprs: 44
; NumVgprs: 11
; ScratchSize: 0
; MemoryBound: 0
; FloatMode: 240
; IeeeMode: 1
; LDSByteSize: 0 bytes/workgroup (compile time only)
; SGPRBlocks: 5
; VGPRBlocks: 2
; NumSGPRsForWavesPerEU: 44
; NumVGPRsForWavesPerEU: 11
; Occupancy: 10
; WaveLimiterHint : 0
; COMPUTE_PGM_RSRC2:SCRATCH_EN: 0
; COMPUTE_PGM_RSRC2:USER_SGPR: 6
; COMPUTE_PGM_RSRC2:TRAP_HANDLER: 0
; COMPUTE_PGM_RSRC2:TGID_X_EN: 1
; COMPUTE_PGM_RSRC2:TGID_Y_EN: 1
; COMPUTE_PGM_RSRC2:TGID_Z_EN: 1
; COMPUTE_PGM_RSRC2:TIDIG_COMP_CNT: 0
	.section	.text._ZL10tri_kernelI6__halfLb0ELi0EEvPKT_PS1_llllllllllll,"axG",@progbits,_ZL10tri_kernelI6__halfLb0ELi0EEvPKT_PS1_llllllllllll,comdat
	.globl	_ZL10tri_kernelI6__halfLb0ELi0EEvPKT_PS1_llllllllllll ; -- Begin function _ZL10tri_kernelI6__halfLb0ELi0EEvPKT_PS1_llllllllllll
	.p2align	8
	.type	_ZL10tri_kernelI6__halfLb0ELi0EEvPKT_PS1_llllllllllll,@function
_ZL10tri_kernelI6__halfLb0ELi0EEvPKT_PS1_llllllllllll: ; @_ZL10tri_kernelI6__halfLb0ELi0EEvPKT_PS1_llllllllllll
; %bb.0:
	s_load_dwordx8 s[12:19], s[4:5], 0x0
	s_load_dwordx4 s[0:3], s[4:5], 0x20
	s_mov_b32 s9, 0
	v_mov_b32_e32 v1, s8
	s_mov_b32 s10, s7
	v_mov_b32_e32 v2, s9
	s_mov_b32 s11, s9
	s_waitcnt lgkmcnt(0)
	v_cmp_le_i64_e32 vcc, s[2:3], v[1:2]
	v_mov_b32_e32 v1, s10
	v_mov_b32_e32 v2, s11
	s_mov_b32 s7, s9
	v_cmp_le_i64_e64 s[0:1], s[0:1], v[1:2]
	v_mov_b32_e32 v1, s6
	v_mov_b32_e32 v2, s7
	v_cmp_le_i64_e64 s[2:3], s[18:19], v[1:2]
	s_or_b64 s[0:1], s[0:1], vcc
	s_or_b64 s[0:1], s[2:3], s[0:1]
	s_and_b64 vcc, exec, s[0:1]
	s_cbranch_vccnz .LBB6_12
; %bb.1:
	s_load_dwordx4 s[20:23], s[4:5], 0x58
	s_load_dwordx2 s[0:1], s[4:5], 0x68
	v_mov_b32_e32 v1, 0
	v_cmp_gt_u32_e32 vcc, s6, v0
	s_waitcnt lgkmcnt(0)
	s_mul_i32 s3, s23, s10
	s_mul_hi_u32 s9, s22, s10
	s_mul_i32 s1, s1, s8
	s_add_i32 s3, s9, s3
	s_mul_hi_u32 s9, s0, s8
	s_mul_i32 s2, s22, s10
	s_add_i32 s19, s9, s1
	s_mul_i32 s18, s0, s8
	s_and_saveexec_b64 s[22:23], vcc
	s_cbranch_execz .LBB6_9
; %bb.2:
	s_load_dword s9, s[4:5], 0x7c
	v_add_u32_e32 v2, 1, v0
	v_mov_b32_e32 v3, v1
	v_cmp_lt_u64_e32 vcc, s[6:7], v[2:3]
	v_mov_b32_e32 v4, s6
	s_mul_i32 s0, s20, 0
	s_mul_hi_u32 s1, s20, s6
	v_cndmask_b32_e32 v2, v4, v2, vcc
	s_add_i32 s0, s1, s0
	s_mul_i32 s1, s21, s6
	v_sub_co_u32_e32 v2, vcc, v2, v0
	s_add_i32 s25, s0, s1
	s_waitcnt lgkmcnt(0)
	s_and_b32 s9, s9, 0xffff
	v_subb_co_u32_e64 v3, s[0:1], 0, 0, vcc
	v_cmp_lt_u64_e32 vcc, 1, v[2:3]
	s_cmp_eq_u32 s9, 1
	s_cselect_b64 s[0:1], -1, 0
	v_mov_b32_e32 v5, v1
	s_mul_i32 s24, s20, s6
	s_and_b64 s[28:29], vcc, s[0:1]
	s_mov_b64 s[0:1], -1
	v_mov_b32_e32 v4, v0
	s_and_saveexec_b64 s[26:27], s[28:29]
	s_cbranch_execz .LBB6_6
; %bb.3:
	s_lshl_b64 s[0:1], s[24:25], 1
	s_add_u32 s11, s14, s0
	s_addc_u32 s28, s15, s1
	s_lshl_b64 s[0:1], s[2:3], 1
	s_add_u32 s11, s11, s0
	s_addc_u32 s28, s28, s1
	;; [unrolled: 3-line block ×3, first 2 shown]
	v_mov_b32_e32 v5, v3
	v_lshlrev_b32_e32 v1, 1, v0
	v_and_b32_e32 v4, -2, v2
	v_mov_b32_e32 v7, s1
	v_add_co_u32_e32 v6, vcc, s0, v1
	v_mov_b32_e32 v9, v5
	v_addc_co_u32_e32 v7, vcc, 0, v7, vcc
	s_mov_b64 s[28:29], 0
	v_mov_b32_e32 v1, 0
	v_mov_b32_e32 v8, v4
.LBB6_4:                                ; =>This Inner Loop Header: Depth=1
	v_add_co_u32_e64 v8, s[0:1], -2, v8
	v_addc_co_u32_e64 v9, s[0:1], -1, v9, s[0:1]
	v_cmp_eq_u64_e64 s[0:1], 0, v[8:9]
	global_store_dword v[6:7], v1, off
	v_add_co_u32_e32 v6, vcc, 4, v6
	s_or_b64 s[28:29], s[0:1], s[28:29]
	v_addc_co_u32_e32 v7, vcc, 0, v7, vcc
	s_andn2_b64 exec, exec, s[28:29]
	s_cbranch_execnz .LBB6_4
; %bb.5:
	s_or_b64 exec, exec, s[28:29]
	v_cmp_ne_u64_e32 vcc, v[2:3], v[4:5]
	v_add_co_u32_e64 v4, s[0:1], v4, v0
	v_addc_co_u32_e64 v5, s[0:1], 0, v5, s[0:1]
	s_orn2_b64 s[0:1], vcc, exec
.LBB6_6:
	s_or_b64 exec, exec, s[26:27]
	s_and_b64 exec, exec, s[0:1]
	s_cbranch_execz .LBB6_9
; %bb.7:
	s_lshl_b64 s[0:1], s[18:19], 1
	s_lshl_b64 s[26:27], s[2:3], 1
	s_add_u32 s11, s0, s26
	s_addc_u32 s26, s1, s27
	s_lshl_b64 s[0:1], s[24:25], 1
	s_add_u32 s0, s11, s0
	s_addc_u32 s1, s26, s1
	v_lshlrev_b64 v[1:2], 1, v[4:5]
	s_add_u32 s0, s14, s0
	s_addc_u32 s1, s15, s1
	v_mov_b32_e32 v3, s1
	v_add_co_u32_e32 v1, vcc, s0, v1
	v_addc_co_u32_e32 v2, vcc, v3, v2, vcc
	s_lshl_b32 s11, s9, 1
	s_mov_b64 s[24:25], 0
	v_mov_b32_e32 v3, 0
.LBB6_8:                                ; =>This Inner Loop Header: Depth=1
	v_add_co_u32_e32 v4, vcc, s9, v4
	v_addc_co_u32_e32 v5, vcc, 0, v5, vcc
	v_cmp_le_u64_e64 s[0:1], s[6:7], v[4:5]
	global_store_short v[1:2], v3, off
	v_add_co_u32_e32 v1, vcc, s11, v1
	s_or_b64 s[24:25], s[0:1], s[24:25]
	v_addc_co_u32_e32 v2, vcc, 0, v2, vcc
	s_andn2_b64 exec, exec, s[24:25]
	s_cbranch_execnz .LBB6_8
.LBB6_9:
	s_or_b64 exec, exec, s[22:23]
	v_add_co_u32_e32 v1, vcc, s6, v0
	v_addc_co_u32_e64 v2, s[0:1], 0, 0, vcc
	v_cmp_gt_i64_e32 vcc, s[16:17], v[1:2]
	s_and_saveexec_b64 s[0:1], vcc
	s_cbranch_execz .LBB6_12
; %bb.10:
	s_load_dword s7, s[4:5], 0x7c
	s_load_dwordx4 s[24:27], s[4:5], 0x38
	s_load_dwordx2 s[0:1], s[4:5], 0x48
	s_lshl_b64 s[4:5], s[18:19], 1
	s_lshl_b64 s[2:3], s[2:3], 1
	s_waitcnt lgkmcnt(0)
	s_and_b32 s7, s7, 0xffff
	s_add_u32 s4, s4, s2
	s_addc_u32 s5, s5, s3
	s_lshl_b64 s[2:3], s[20:21], 1
	s_add_u32 s2, s2, 2
	s_addc_u32 s3, s3, 0
	s_mul_i32 s3, s3, s6
	s_mul_hi_u32 s9, s2, s6
	s_add_i32 s9, s9, s3
	s_mul_i32 s2, s2, s6
	s_add_u32 s2, s4, s2
	s_addc_u32 s3, s5, s9
	v_lshlrev_b32_e32 v4, 1, v0
	s_add_u32 s2, s14, s2
	s_addc_u32 s3, s15, s3
	v_add_co_u32_e32 v0, vcc, s2, v4
	s_mul_i32 s1, s1, s8
	s_mul_hi_u32 s2, s0, s8
	v_mov_b32_e32 v3, s3
	s_add_i32 s1, s2, s1
	s_mul_i32 s2, s27, s10
	s_mul_hi_u32 s3, s26, s10
	s_mul_i32 s0, s0, s8
	s_add_i32 s3, s3, s2
	s_mul_i32 s2, s26, s10
	s_lshl_b32 s9, s7, 1
	s_lshl_b64 s[0:1], s[0:1], 1
	s_lshl_b64 s[2:3], s[2:3], 1
	s_add_u32 s2, s0, s2
	s_addc_u32 s3, s1, s3
	s_lshl_b64 s[0:1], s[24:25], 1
	s_add_u32 s0, s0, 2
	s_addc_u32 s1, s1, 0
	s_mul_i32 s1, s1, s6
	s_mul_hi_u32 s4, s0, s6
	s_add_i32 s4, s4, s1
	s_mul_i32 s0, s0, s6
	s_add_u32 s0, s2, s0
	s_addc_u32 s1, s3, s4
	s_add_u32 s0, s12, s0
	v_addc_co_u32_e32 v3, vcc, 0, v3, vcc
	s_addc_u32 s1, s13, s1
	v_mov_b32_e32 v5, s1
	v_add_co_u32_e32 v4, vcc, s0, v4
	v_addc_co_u32_e32 v5, vcc, 0, v5, vcc
	s_mov_b64 s[2:3], 0
	s_mov_b64 s[4:5], 0
.LBB6_11:                               ; =>This Inner Loop Header: Depth=1
	v_mov_b32_e32 v8, s5
	v_add_co_u32_e32 v6, vcc, s4, v4
	v_addc_co_u32_e32 v7, vcc, v5, v8, vcc
	global_load_ushort v9, v[6:7], off
	v_add_co_u32_e32 v6, vcc, s4, v0
	v_add_co_u32_e64 v1, s[0:1], s7, v1
	v_addc_co_u32_e64 v2, s[0:1], 0, v2, s[0:1]
	v_addc_co_u32_e32 v7, vcc, v3, v8, vcc
	s_add_u32 s4, s4, s9
	v_cmp_le_i64_e32 vcc, s[16:17], v[1:2]
	s_addc_u32 s5, s5, 0
	s_or_b64 s[2:3], vcc, s[2:3]
	s_waitcnt vmcnt(0)
	global_store_short v[6:7], v9, off
	s_andn2_b64 exec, exec, s[2:3]
	s_cbranch_execnz .LBB6_11
.LBB6_12:
	s_endpgm
	.section	.rodata,"a",@progbits
	.p2align	6, 0x0
	.amdhsa_kernel _ZL10tri_kernelI6__halfLb0ELi0EEvPKT_PS1_llllllllllll
		.amdhsa_group_segment_fixed_size 0
		.amdhsa_private_segment_fixed_size 0
		.amdhsa_kernarg_size 368
		.amdhsa_user_sgpr_count 6
		.amdhsa_user_sgpr_private_segment_buffer 1
		.amdhsa_user_sgpr_dispatch_ptr 0
		.amdhsa_user_sgpr_queue_ptr 0
		.amdhsa_user_sgpr_kernarg_segment_ptr 1
		.amdhsa_user_sgpr_dispatch_id 0
		.amdhsa_user_sgpr_flat_scratch_init 0
		.amdhsa_user_sgpr_private_segment_size 0
		.amdhsa_uses_dynamic_stack 0
		.amdhsa_system_sgpr_private_segment_wavefront_offset 0
		.amdhsa_system_sgpr_workgroup_id_x 1
		.amdhsa_system_sgpr_workgroup_id_y 1
		.amdhsa_system_sgpr_workgroup_id_z 1
		.amdhsa_system_sgpr_workgroup_info 0
		.amdhsa_system_vgpr_workitem_id 0
		.amdhsa_next_free_vgpr 10
		.amdhsa_next_free_sgpr 30
		.amdhsa_reserve_vcc 1
		.amdhsa_reserve_flat_scratch 0
		.amdhsa_float_round_mode_32 0
		.amdhsa_float_round_mode_16_64 0
		.amdhsa_float_denorm_mode_32 3
		.amdhsa_float_denorm_mode_16_64 3
		.amdhsa_dx10_clamp 1
		.amdhsa_ieee_mode 1
		.amdhsa_fp16_overflow 0
		.amdhsa_exception_fp_ieee_invalid_op 0
		.amdhsa_exception_fp_denorm_src 0
		.amdhsa_exception_fp_ieee_div_zero 0
		.amdhsa_exception_fp_ieee_overflow 0
		.amdhsa_exception_fp_ieee_underflow 0
		.amdhsa_exception_fp_ieee_inexact 0
		.amdhsa_exception_int_div_zero 0
	.end_amdhsa_kernel
	.section	.text._ZL10tri_kernelI6__halfLb0ELi0EEvPKT_PS1_llllllllllll,"axG",@progbits,_ZL10tri_kernelI6__halfLb0ELi0EEvPKT_PS1_llllllllllll,comdat
.Lfunc_end6:
	.size	_ZL10tri_kernelI6__halfLb0ELi0EEvPKT_PS1_llllllllllll, .Lfunc_end6-_ZL10tri_kernelI6__halfLb0ELi0EEvPKT_PS1_llllllllllll
                                        ; -- End function
	.set _ZL10tri_kernelI6__halfLb0ELi0EEvPKT_PS1_llllllllllll.num_vgpr, 10
	.set _ZL10tri_kernelI6__halfLb0ELi0EEvPKT_PS1_llllllllllll.num_agpr, 0
	.set _ZL10tri_kernelI6__halfLb0ELi0EEvPKT_PS1_llllllllllll.numbered_sgpr, 30
	.set _ZL10tri_kernelI6__halfLb0ELi0EEvPKT_PS1_llllllllllll.num_named_barrier, 0
	.set _ZL10tri_kernelI6__halfLb0ELi0EEvPKT_PS1_llllllllllll.private_seg_size, 0
	.set _ZL10tri_kernelI6__halfLb0ELi0EEvPKT_PS1_llllllllllll.uses_vcc, 1
	.set _ZL10tri_kernelI6__halfLb0ELi0EEvPKT_PS1_llllllllllll.uses_flat_scratch, 0
	.set _ZL10tri_kernelI6__halfLb0ELi0EEvPKT_PS1_llllllllllll.has_dyn_sized_stack, 0
	.set _ZL10tri_kernelI6__halfLb0ELi0EEvPKT_PS1_llllllllllll.has_recursion, 0
	.set _ZL10tri_kernelI6__halfLb0ELi0EEvPKT_PS1_llllllllllll.has_indirect_call, 0
	.section	.AMDGPU.csdata,"",@progbits
; Kernel info:
; codeLenInByte = 896
; TotalNumSgprs: 34
; NumVgprs: 10
; ScratchSize: 0
; MemoryBound: 0
; FloatMode: 240
; IeeeMode: 1
; LDSByteSize: 0 bytes/workgroup (compile time only)
; SGPRBlocks: 4
; VGPRBlocks: 2
; NumSGPRsForWavesPerEU: 34
; NumVGPRsForWavesPerEU: 10
; Occupancy: 10
; WaveLimiterHint : 0
; COMPUTE_PGM_RSRC2:SCRATCH_EN: 0
; COMPUTE_PGM_RSRC2:USER_SGPR: 6
; COMPUTE_PGM_RSRC2:TRAP_HANDLER: 0
; COMPUTE_PGM_RSRC2:TGID_X_EN: 1
; COMPUTE_PGM_RSRC2:TGID_Y_EN: 1
; COMPUTE_PGM_RSRC2:TGID_Z_EN: 1
; COMPUTE_PGM_RSRC2:TIDIG_COMP_CNT: 0
	.section	.text._ZL10tri_kernelI6__halfLb0ELi1EEvPKT_PS1_llllllllllll,"axG",@progbits,_ZL10tri_kernelI6__halfLb0ELi1EEvPKT_PS1_llllllllllll,comdat
	.globl	_ZL10tri_kernelI6__halfLb0ELi1EEvPKT_PS1_llllllllllll ; -- Begin function _ZL10tri_kernelI6__halfLb0ELi1EEvPKT_PS1_llllllllllll
	.p2align	8
	.type	_ZL10tri_kernelI6__halfLb0ELi1EEvPKT_PS1_llllllllllll,@function
_ZL10tri_kernelI6__halfLb0ELi1EEvPKT_PS1_llllllllllll: ; @_ZL10tri_kernelI6__halfLb0ELi1EEvPKT_PS1_llllllllllll
; %bb.0:
	s_load_dwordx8 s[12:19], s[4:5], 0x0
	s_load_dwordx4 s[0:3], s[4:5], 0x20
	s_mov_b32 s9, 0
	v_mov_b32_e32 v1, s8
	s_mov_b32 s10, s7
	v_mov_b32_e32 v2, s9
	s_mov_b32 s11, s9
	s_waitcnt lgkmcnt(0)
	v_cmp_le_i64_e32 vcc, s[2:3], v[1:2]
	v_mov_b32_e32 v1, s10
	v_mov_b32_e32 v2, s11
	s_mov_b32 s7, s9
	v_cmp_le_i64_e64 s[0:1], s[0:1], v[1:2]
	v_mov_b32_e32 v1, s6
	v_mov_b32_e32 v2, s7
	v_cmp_le_i64_e64 s[2:3], s[18:19], v[1:2]
	s_or_b64 s[0:1], s[0:1], vcc
	s_or_b64 s[0:1], s[2:3], s[0:1]
	s_and_b64 vcc, exec, s[0:1]
	s_cbranch_vccnz .LBB7_12
; %bb.1:
	s_load_dwordx4 s[20:23], s[4:5], 0x58
	s_load_dwordx2 s[0:1], s[4:5], 0x68
	s_add_u32 s9, s6, 1
	s_addc_u32 s11, 0, 0
	v_mov_b32_e32 v1, 0
	s_waitcnt lgkmcnt(0)
	s_mul_i32 s2, s23, s10
	s_mul_hi_u32 s3, s22, s10
	s_add_i32 s19, s3, s2
	s_mul_i32 s1, s1, s8
	s_mul_hi_u32 s2, s0, s8
	s_mul_i32 s18, s22, s10
	s_add_i32 s23, s2, s1
	s_mul_i32 s22, s0, s8
	v_cmp_ge_u32_e32 vcc, s6, v0
	s_and_saveexec_b64 s[2:3], vcc
	s_cbranch_execz .LBB7_9
; %bb.2:
	s_load_dword s0, s[4:5], 0x7c
	s_mul_i32 s1, s21, s6
	s_mul_hi_u32 s25, s20, s6
	v_mov_b32_e32 v3, s11
	v_sub_co_u32_e32 v2, vcc, s9, v0
	s_add_i32 s25, s25, s1
	s_waitcnt lgkmcnt(0)
	s_and_b32 s30, s0, 0xffff
	v_subbrev_co_u32_e32 v3, vcc, 0, v3, vcc
	v_cmp_lt_u64_e32 vcc, 1, v[2:3]
	s_cmp_eq_u32 s30, 1
	s_cselect_b64 s[0:1], -1, 0
	v_mov_b32_e32 v5, v1
	s_mul_i32 s24, s20, s6
	s_and_b64 s[28:29], vcc, s[0:1]
	s_mov_b64 s[0:1], -1
	v_mov_b32_e32 v4, v0
	s_and_saveexec_b64 s[26:27], s[28:29]
	s_cbranch_execz .LBB7_6
; %bb.3:
	s_lshl_b64 s[0:1], s[24:25], 1
	s_add_u32 s28, s14, s0
	s_addc_u32 s29, s15, s1
	s_lshl_b64 s[0:1], s[18:19], 1
	s_add_u32 s28, s28, s0
	s_addc_u32 s29, s29, s1
	;; [unrolled: 3-line block ×3, first 2 shown]
	v_mov_b32_e32 v5, v3
	v_lshlrev_b32_e32 v1, 1, v0
	v_and_b32_e32 v4, -2, v2
	v_mov_b32_e32 v7, s1
	v_add_co_u32_e32 v6, vcc, s0, v1
	v_mov_b32_e32 v9, v5
	v_addc_co_u32_e32 v7, vcc, 0, v7, vcc
	s_mov_b64 s[28:29], 0
	v_mov_b32_e32 v1, 0
	v_mov_b32_e32 v8, v4
.LBB7_4:                                ; =>This Inner Loop Header: Depth=1
	v_add_co_u32_e64 v8, s[0:1], -2, v8
	v_addc_co_u32_e64 v9, s[0:1], -1, v9, s[0:1]
	v_cmp_eq_u64_e64 s[0:1], 0, v[8:9]
	global_store_dword v[6:7], v1, off
	v_add_co_u32_e32 v6, vcc, 4, v6
	s_or_b64 s[28:29], s[0:1], s[28:29]
	v_addc_co_u32_e32 v7, vcc, 0, v7, vcc
	s_andn2_b64 exec, exec, s[28:29]
	s_cbranch_execnz .LBB7_4
; %bb.5:
	s_or_b64 exec, exec, s[28:29]
	v_cmp_ne_u64_e32 vcc, v[2:3], v[4:5]
	v_add_co_u32_e64 v4, s[0:1], v4, v0
	v_addc_co_u32_e64 v5, s[0:1], 0, v5, s[0:1]
	s_orn2_b64 s[0:1], vcc, exec
.LBB7_6:
	s_or_b64 exec, exec, s[26:27]
	s_and_b64 exec, exec, s[0:1]
	s_cbranch_execz .LBB7_9
; %bb.7:
	s_lshl_b64 s[0:1], s[22:23], 1
	s_lshl_b64 s[26:27], s[18:19], 1
	s_add_u32 s26, s0, s26
	s_addc_u32 s27, s1, s27
	s_lshl_b64 s[0:1], s[24:25], 1
	s_add_u32 s0, s26, s0
	s_addc_u32 s1, s27, s1
	v_lshlrev_b64 v[1:2], 1, v[4:5]
	s_add_u32 s0, s14, s0
	s_addc_u32 s1, s15, s1
	v_mov_b32_e32 v3, s1
	v_add_co_u32_e32 v1, vcc, s0, v1
	v_addc_co_u32_e32 v2, vcc, v3, v2, vcc
	s_lshl_b32 s26, s30, 1
	s_mov_b64 s[24:25], 0
	v_mov_b32_e32 v3, 0
.LBB7_8:                                ; =>This Inner Loop Header: Depth=1
	v_add_co_u32_e32 v4, vcc, s30, v4
	v_addc_co_u32_e32 v5, vcc, 0, v5, vcc
	v_cmp_lt_u64_e64 s[0:1], s[6:7], v[4:5]
	global_store_short v[1:2], v3, off
	v_add_co_u32_e32 v1, vcc, s26, v1
	s_or_b64 s[24:25], s[0:1], s[24:25]
	v_addc_co_u32_e32 v2, vcc, 0, v2, vcc
	s_andn2_b64 exec, exec, s[24:25]
	s_cbranch_execnz .LBB7_8
.LBB7_9:
	s_or_b64 exec, exec, s[2:3]
	v_mov_b32_e32 v2, s11
	v_add_co_u32_e32 v1, vcc, s9, v0
	v_addc_co_u32_e32 v2, vcc, 0, v2, vcc
	v_cmp_gt_i64_e32 vcc, s[16:17], v[1:2]
	s_and_saveexec_b64 s[0:1], vcc
	s_cbranch_execz .LBB7_12
; %bb.10:
	s_load_dwordx4 s[0:3], s[4:5], 0x38
	s_load_dwordx2 s[24:25], s[4:5], 0x48
	s_load_dword s7, s[4:5], 0x7c
	v_mov_b32_e32 v5, s15
	v_mov_b32_e32 v7, s13
	s_waitcnt lgkmcnt(0)
	s_mul_i32 s3, s3, s10
	s_mul_hi_u32 s4, s2, s10
	s_add_i32 s4, s4, s3
	s_mul_i32 s3, s25, s8
	s_mul_hi_u32 s5, s24, s8
	s_add_i32 s5, s5, s3
	s_and_b32 s7, s7, 0xffff
	s_mul_i32 s3, s24, s8
	s_add_u32 s8, s22, s18
	s_addc_u32 s9, s23, s19
	s_mul_i32 s2, s2, s10
	s_add_u32 s10, s20, 1
	s_addc_u32 s11, s21, 0
	s_mul_i32 s11, s11, s6
	s_mul_hi_u32 s18, s10, s6
	s_add_i32 s18, s18, s11
	s_mul_i32 s10, s10, s6
	s_add_u32 s8, s8, s10
	s_addc_u32 s9, s9, s18
	v_add_co_u32_e32 v3, vcc, s8, v0
	s_lshl_b32 s8, s7, 1
	s_add_u32 s2, s3, s2
	s_addc_u32 s3, s5, s4
	v_mov_b32_e32 v4, s9
	s_add_u32 s0, s0, 1
	v_addc_co_u32_e32 v4, vcc, 0, v4, vcc
	s_addc_u32 s1, s1, 0
	v_lshlrev_b64 v[3:4], 1, v[3:4]
	s_mul_i32 s1, s1, s6
	s_mul_hi_u32 s4, s0, s6
	s_add_i32 s4, s4, s1
	s_mul_i32 s0, s0, s6
	v_add_co_u32_e32 v3, vcc, s14, v3
	s_add_u32 s0, s2, s0
	v_addc_co_u32_e32 v4, vcc, v5, v4, vcc
	s_addc_u32 s1, s3, s4
	v_mov_b32_e32 v6, s1
	v_add_co_u32_e32 v5, vcc, s0, v0
	v_addc_co_u32_e32 v6, vcc, 0, v6, vcc
	v_lshlrev_b64 v[5:6], 1, v[5:6]
	s_mov_b64 s[2:3], 2
	v_add_co_u32_e32 v0, vcc, s12, v5
	v_addc_co_u32_e32 v5, vcc, v7, v6, vcc
	s_mov_b64 s[4:5], 0
.LBB7_11:                               ; =>This Inner Loop Header: Depth=1
	v_mov_b32_e32 v8, s3
	v_add_co_u32_e32 v6, vcc, s2, v0
	v_addc_co_u32_e32 v7, vcc, v5, v8, vcc
	global_load_ushort v9, v[6:7], off
	v_add_co_u32_e32 v6, vcc, s2, v3
	v_add_co_u32_e64 v1, s[0:1], s7, v1
	v_addc_co_u32_e64 v2, s[0:1], 0, v2, s[0:1]
	v_addc_co_u32_e32 v7, vcc, v4, v8, vcc
	s_add_u32 s2, s2, s8
	v_cmp_le_i64_e32 vcc, s[16:17], v[1:2]
	s_addc_u32 s3, s3, 0
	s_or_b64 s[4:5], vcc, s[4:5]
	s_waitcnt vmcnt(0)
	global_store_short v[6:7], v9, off
	s_andn2_b64 exec, exec, s[4:5]
	s_cbranch_execnz .LBB7_11
.LBB7_12:
	s_endpgm
	.section	.rodata,"a",@progbits
	.p2align	6, 0x0
	.amdhsa_kernel _ZL10tri_kernelI6__halfLb0ELi1EEvPKT_PS1_llllllllllll
		.amdhsa_group_segment_fixed_size 0
		.amdhsa_private_segment_fixed_size 0
		.amdhsa_kernarg_size 368
		.amdhsa_user_sgpr_count 6
		.amdhsa_user_sgpr_private_segment_buffer 1
		.amdhsa_user_sgpr_dispatch_ptr 0
		.amdhsa_user_sgpr_queue_ptr 0
		.amdhsa_user_sgpr_kernarg_segment_ptr 1
		.amdhsa_user_sgpr_dispatch_id 0
		.amdhsa_user_sgpr_flat_scratch_init 0
		.amdhsa_user_sgpr_private_segment_size 0
		.amdhsa_uses_dynamic_stack 0
		.amdhsa_system_sgpr_private_segment_wavefront_offset 0
		.amdhsa_system_sgpr_workgroup_id_x 1
		.amdhsa_system_sgpr_workgroup_id_y 1
		.amdhsa_system_sgpr_workgroup_id_z 1
		.amdhsa_system_sgpr_workgroup_info 0
		.amdhsa_system_vgpr_workitem_id 0
		.amdhsa_next_free_vgpr 10
		.amdhsa_next_free_sgpr 31
		.amdhsa_reserve_vcc 1
		.amdhsa_reserve_flat_scratch 0
		.amdhsa_float_round_mode_32 0
		.amdhsa_float_round_mode_16_64 0
		.amdhsa_float_denorm_mode_32 3
		.amdhsa_float_denorm_mode_16_64 3
		.amdhsa_dx10_clamp 1
		.amdhsa_ieee_mode 1
		.amdhsa_fp16_overflow 0
		.amdhsa_exception_fp_ieee_invalid_op 0
		.amdhsa_exception_fp_denorm_src 0
		.amdhsa_exception_fp_ieee_div_zero 0
		.amdhsa_exception_fp_ieee_overflow 0
		.amdhsa_exception_fp_ieee_underflow 0
		.amdhsa_exception_fp_ieee_inexact 0
		.amdhsa_exception_int_div_zero 0
	.end_amdhsa_kernel
	.section	.text._ZL10tri_kernelI6__halfLb0ELi1EEvPKT_PS1_llllllllllll,"axG",@progbits,_ZL10tri_kernelI6__halfLb0ELi1EEvPKT_PS1_llllllllllll,comdat
.Lfunc_end7:
	.size	_ZL10tri_kernelI6__halfLb0ELi1EEvPKT_PS1_llllllllllll, .Lfunc_end7-_ZL10tri_kernelI6__halfLb0ELi1EEvPKT_PS1_llllllllllll
                                        ; -- End function
	.set _ZL10tri_kernelI6__halfLb0ELi1EEvPKT_PS1_llllllllllll.num_vgpr, 10
	.set _ZL10tri_kernelI6__halfLb0ELi1EEvPKT_PS1_llllllllllll.num_agpr, 0
	.set _ZL10tri_kernelI6__halfLb0ELi1EEvPKT_PS1_llllllllllll.numbered_sgpr, 31
	.set _ZL10tri_kernelI6__halfLb0ELi1EEvPKT_PS1_llllllllllll.num_named_barrier, 0
	.set _ZL10tri_kernelI6__halfLb0ELi1EEvPKT_PS1_llllllllllll.private_seg_size, 0
	.set _ZL10tri_kernelI6__halfLb0ELi1EEvPKT_PS1_llllllllllll.uses_vcc, 1
	.set _ZL10tri_kernelI6__halfLb0ELi1EEvPKT_PS1_llllllllllll.uses_flat_scratch, 0
	.set _ZL10tri_kernelI6__halfLb0ELi1EEvPKT_PS1_llllllllllll.has_dyn_sized_stack, 0
	.set _ZL10tri_kernelI6__halfLb0ELi1EEvPKT_PS1_llllllllllll.has_recursion, 0
	.set _ZL10tri_kernelI6__halfLb0ELi1EEvPKT_PS1_llllllllllll.has_indirect_call, 0
	.section	.AMDGPU.csdata,"",@progbits
; Kernel info:
; codeLenInByte = 872
; TotalNumSgprs: 35
; NumVgprs: 10
; ScratchSize: 0
; MemoryBound: 0
; FloatMode: 240
; IeeeMode: 1
; LDSByteSize: 0 bytes/workgroup (compile time only)
; SGPRBlocks: 4
; VGPRBlocks: 2
; NumSGPRsForWavesPerEU: 35
; NumVGPRsForWavesPerEU: 10
; Occupancy: 10
; WaveLimiterHint : 0
; COMPUTE_PGM_RSRC2:SCRATCH_EN: 0
; COMPUTE_PGM_RSRC2:USER_SGPR: 6
; COMPUTE_PGM_RSRC2:TRAP_HANDLER: 0
; COMPUTE_PGM_RSRC2:TGID_X_EN: 1
; COMPUTE_PGM_RSRC2:TGID_Y_EN: 1
; COMPUTE_PGM_RSRC2:TGID_Z_EN: 1
; COMPUTE_PGM_RSRC2:TIDIG_COMP_CNT: 0
	.section	.text._ZL10tri_kernelI14__hip_bfloat16Lb1ELi0EEvPKT_PS1_llllllllllll,"axG",@progbits,_ZL10tri_kernelI14__hip_bfloat16Lb1ELi0EEvPKT_PS1_llllllllllll,comdat
	.globl	_ZL10tri_kernelI14__hip_bfloat16Lb1ELi0EEvPKT_PS1_llllllllllll ; -- Begin function _ZL10tri_kernelI14__hip_bfloat16Lb1ELi0EEvPKT_PS1_llllllllllll
	.p2align	8
	.type	_ZL10tri_kernelI14__hip_bfloat16Lb1ELi0EEvPKT_PS1_llllllllllll,@function
_ZL10tri_kernelI14__hip_bfloat16Lb1ELi0EEvPKT_PS1_llllllllllll: ; @_ZL10tri_kernelI14__hip_bfloat16Lb1ELi0EEvPKT_PS1_llllllllllll
; %bb.0:
	s_load_dwordx8 s[12:19], s[4:5], 0x0
	s_load_dwordx4 s[0:3], s[4:5], 0x20
	s_mov_b32 s9, 0
	v_mov_b32_e32 v1, s8
	s_mov_b32 s22, s7
	v_mov_b32_e32 v2, s9
	s_mov_b32 s23, s9
	s_waitcnt lgkmcnt(0)
	v_cmp_le_i64_e32 vcc, s[2:3], v[1:2]
	v_mov_b32_e32 v1, s22
	v_mov_b32_e32 v2, s23
	s_mov_b32 s7, s9
	v_cmp_le_i64_e64 s[0:1], s[0:1], v[1:2]
	v_mov_b32_e32 v1, s6
	v_mov_b32_e32 v2, s7
	v_cmp_le_i64_e64 s[2:3], s[18:19], v[1:2]
	s_or_b64 s[0:1], s[0:1], vcc
	s_or_b64 s[0:1], s[2:3], s[0:1]
	s_and_b64 vcc, exec, s[0:1]
	s_cbranch_vccnz .LBB8_12
; %bb.1:
	s_load_dwordx4 s[24:27], s[4:5], 0x58
	s_load_dwordx2 s[0:1], s[4:5], 0x68
	v_mov_b32_e32 v1, 0
	v_cmp_gt_u32_e32 vcc, s6, v0
	s_waitcnt lgkmcnt(0)
	s_mul_i32 s3, s25, s6
	s_mul_hi_u32 s9, s24, s6
	s_mul_i32 s10, s27, s22
	s_add_i32 s3, s9, s3
	s_mul_hi_u32 s9, s26, s22
	s_add_i32 s11, s9, s10
	s_mul_i32 s1, s1, s8
	s_mul_hi_u32 s9, s0, s8
	s_mul_i32 s2, s24, s6
	s_mul_i32 s10, s26, s22
	s_add_i32 s19, s9, s1
	s_mul_i32 s18, s0, s8
	s_and_saveexec_b64 s[20:21], vcc
	s_cbranch_execz .LBB8_4
; %bb.2:
	s_load_dword s9, s[4:5], 0x7c
	s_load_dwordx4 s[28:31], s[4:5], 0x38
	s_load_dwordx2 s[0:1], s[4:5], 0x48
	s_lshl_b64 s[24:25], s[18:19], 1
	s_lshl_b64 s[26:27], s[10:11], 1
	s_waitcnt lgkmcnt(0)
	s_and_b32 s23, s9, 0xffff
	s_add_u32 s9, s24, s26
	s_addc_u32 s26, s25, s27
	s_lshl_b64 s[24:25], s[2:3], 1
	s_add_u32 s9, s9, s24
	s_addc_u32 s24, s26, s25
	v_lshlrev_b32_e32 v2, 1, v0
	s_add_u32 s9, s14, s9
	v_add_co_u32_e32 v3, vcc, s9, v2
	s_mul_i32 s1, s1, s8
	s_mul_hi_u32 s9, s0, s8
	s_addc_u32 s24, s15, s24
	s_add_i32 s1, s9, s1
	s_mul_i32 s0, s0, s8
	s_mul_i32 s8, s31, s22
	s_mul_hi_u32 s9, s30, s22
	s_add_i32 s9, s9, s8
	s_mul_i32 s8, s30, s22
	v_mov_b32_e32 v4, s24
	s_lshl_b32 s24, s23, 1
	s_lshl_b64 s[0:1], s[0:1], 1
	s_lshl_b64 s[8:9], s[8:9], 1
	s_add_u32 s8, s0, s8
	s_addc_u32 s9, s1, s9
	s_mul_i32 s0, s29, s6
	s_mul_hi_u32 s1, s28, s6
	s_add_i32 s1, s1, s0
	s_mul_i32 s0, s28, s6
	s_lshl_b64 s[0:1], s[0:1], 1
	s_add_u32 s0, s8, s0
	s_addc_u32 s1, s9, s1
	s_add_u32 s0, s12, s0
	v_addc_co_u32_e32 v4, vcc, 0, v4, vcc
	s_addc_u32 s1, s13, s1
	v_mov_b32_e32 v6, s1
	v_add_co_u32_e32 v5, vcc, s0, v2
	v_mov_b32_e32 v2, v1
	v_addc_co_u32_e32 v6, vcc, 0, v6, vcc
	s_mov_b64 s[8:9], 0
	s_mov_b64 s[12:13], 0
	v_mov_b32_e32 v1, v0
.LBB8_3:                                ; =>This Inner Loop Header: Depth=1
	v_mov_b32_e32 v9, s13
	v_add_co_u32_e32 v7, vcc, s12, v5
	v_addc_co_u32_e32 v8, vcc, v6, v9, vcc
	global_load_ushort v10, v[7:8], off
	v_add_co_u32_e32 v7, vcc, s12, v3
	v_add_co_u32_e64 v1, s[0:1], s23, v1
	v_addc_co_u32_e64 v2, s[0:1], 0, v2, s[0:1]
	v_addc_co_u32_e32 v8, vcc, v4, v9, vcc
	s_add_u32 s12, s12, s24
	v_cmp_le_u64_e32 vcc, s[6:7], v[1:2]
	s_addc_u32 s13, s13, 0
	s_or_b64 s[8:9], vcc, s[8:9]
	s_waitcnt vmcnt(0)
	global_store_short v[7:8], v10, off
	s_andn2_b64 exec, exec, s[8:9]
	s_cbranch_execnz .LBB8_3
.LBB8_4:
	s_or_b64 exec, exec, s[20:21]
	v_add_co_u32_e32 v0, vcc, s6, v0
	v_addc_co_u32_e64 v1, s[0:1], 0, 0, vcc
	v_cmp_gt_i64_e32 vcc, s[16:17], v[0:1]
	s_and_saveexec_b64 s[0:1], vcc
	s_cbranch_execz .LBB8_12
; %bb.5:
	v_add_co_u32_e32 v2, vcc, 1, v0
	v_addc_co_u32_e32 v3, vcc, 0, v1, vcc
	s_load_dword s0, s[4:5], 0x7c
	v_cmp_gt_i64_e32 vcc, s[16:17], v[2:3]
	v_mov_b32_e32 v4, s17
	v_cndmask_b32_e32 v3, v3, v4, vcc
	v_mov_b32_e32 v4, s16
	v_cndmask_b32_e32 v2, v2, v4, vcc
	v_sub_co_u32_e32 v2, vcc, v2, v0
	s_waitcnt lgkmcnt(0)
	s_and_b32 s8, s0, 0xffff
	v_subb_co_u32_e32 v3, vcc, v3, v1, vcc
	v_cmp_lt_u64_e32 vcc, 1, v[2:3]
	s_cmp_eq_u32 s8, 1
	s_cselect_b64 s[0:1], -1, 0
	s_and_b64 s[6:7], vcc, s[0:1]
	s_mov_b64 s[0:1], -1
	s_and_saveexec_b64 s[4:5], s[6:7]
	s_cbranch_execz .LBB8_9
; %bb.6:
	s_lshl_b64 s[0:1], s[2:3], 1
	s_add_u32 s6, s14, s0
	s_addc_u32 s7, s15, s1
	s_lshl_b64 s[0:1], s[10:11], 1
	s_add_u32 s6, s6, s0
	s_addc_u32 s7, s7, s1
	s_lshl_b64 s[0:1], s[18:19], 1
	s_add_u32 s0, s6, s0
	v_lshlrev_b64 v[6:7], 1, v[0:1]
	s_addc_u32 s1, s7, s1
	v_mov_b32_e32 v5, v3
	v_mov_b32_e32 v8, s1
	v_add_co_u32_e32 v6, vcc, s0, v6
	v_and_b32_e32 v4, -2, v2
	v_addc_co_u32_e32 v7, vcc, v8, v7, vcc
	v_mov_b32_e32 v9, v5
	s_mov_b64 s[6:7], 0
	v_mov_b32_e32 v10, 0
	v_mov_b32_e32 v8, v4
.LBB8_7:                                ; =>This Inner Loop Header: Depth=1
	v_add_co_u32_e64 v8, s[0:1], -2, v8
	v_addc_co_u32_e64 v9, s[0:1], -1, v9, s[0:1]
	v_cmp_eq_u64_e64 s[0:1], 0, v[8:9]
	global_store_dword v[6:7], v10, off
	v_add_co_u32_e32 v6, vcc, 4, v6
	s_or_b64 s[6:7], s[0:1], s[6:7]
	v_addc_co_u32_e32 v7, vcc, 0, v7, vcc
	s_andn2_b64 exec, exec, s[6:7]
	s_cbranch_execnz .LBB8_7
; %bb.8:
	s_or_b64 exec, exec, s[6:7]
	v_cmp_ne_u64_e32 vcc, v[2:3], v[4:5]
	v_add_co_u32_e64 v0, s[0:1], v0, v4
	v_addc_co_u32_e64 v1, s[0:1], v1, v5, s[0:1]
	s_orn2_b64 s[0:1], vcc, exec
.LBB8_9:
	s_or_b64 exec, exec, s[4:5]
	s_and_b64 exec, exec, s[0:1]
	s_cbranch_execz .LBB8_12
; %bb.10:
	s_lshl_b64 s[0:1], s[18:19], 1
	s_lshl_b64 s[4:5], s[10:11], 1
	s_add_u32 s4, s0, s4
	s_addc_u32 s5, s1, s5
	s_lshl_b64 s[0:1], s[2:3], 1
	s_add_u32 s0, s4, s0
	s_addc_u32 s1, s5, s1
	v_lshlrev_b64 v[2:3], 1, v[0:1]
	s_add_u32 s0, s14, s0
	s_addc_u32 s1, s15, s1
	v_mov_b32_e32 v4, s1
	v_add_co_u32_e32 v2, vcc, s0, v2
	v_addc_co_u32_e32 v3, vcc, v4, v3, vcc
	s_lshl_b32 s4, s8, 1
	s_mov_b64 s[2:3], 0
	v_mov_b32_e32 v4, 0
.LBB8_11:                               ; =>This Inner Loop Header: Depth=1
	v_add_co_u32_e32 v0, vcc, s8, v0
	v_addc_co_u32_e32 v1, vcc, 0, v1, vcc
	v_cmp_le_i64_e64 s[0:1], s[16:17], v[0:1]
	global_store_short v[2:3], v4, off
	v_add_co_u32_e32 v2, vcc, s4, v2
	s_or_b64 s[2:3], s[0:1], s[2:3]
	v_addc_co_u32_e32 v3, vcc, 0, v3, vcc
	s_andn2_b64 exec, exec, s[2:3]
	s_cbranch_execnz .LBB8_11
.LBB8_12:
	s_endpgm
	.section	.rodata,"a",@progbits
	.p2align	6, 0x0
	.amdhsa_kernel _ZL10tri_kernelI14__hip_bfloat16Lb1ELi0EEvPKT_PS1_llllllllllll
		.amdhsa_group_segment_fixed_size 0
		.amdhsa_private_segment_fixed_size 0
		.amdhsa_kernarg_size 368
		.amdhsa_user_sgpr_count 6
		.amdhsa_user_sgpr_private_segment_buffer 1
		.amdhsa_user_sgpr_dispatch_ptr 0
		.amdhsa_user_sgpr_queue_ptr 0
		.amdhsa_user_sgpr_kernarg_segment_ptr 1
		.amdhsa_user_sgpr_dispatch_id 0
		.amdhsa_user_sgpr_flat_scratch_init 0
		.amdhsa_user_sgpr_private_segment_size 0
		.amdhsa_uses_dynamic_stack 0
		.amdhsa_system_sgpr_private_segment_wavefront_offset 0
		.amdhsa_system_sgpr_workgroup_id_x 1
		.amdhsa_system_sgpr_workgroup_id_y 1
		.amdhsa_system_sgpr_workgroup_id_z 1
		.amdhsa_system_sgpr_workgroup_info 0
		.amdhsa_system_vgpr_workitem_id 0
		.amdhsa_next_free_vgpr 11
		.amdhsa_next_free_sgpr 32
		.amdhsa_reserve_vcc 1
		.amdhsa_reserve_flat_scratch 0
		.amdhsa_float_round_mode_32 0
		.amdhsa_float_round_mode_16_64 0
		.amdhsa_float_denorm_mode_32 3
		.amdhsa_float_denorm_mode_16_64 3
		.amdhsa_dx10_clamp 1
		.amdhsa_ieee_mode 1
		.amdhsa_fp16_overflow 0
		.amdhsa_exception_fp_ieee_invalid_op 0
		.amdhsa_exception_fp_denorm_src 0
		.amdhsa_exception_fp_ieee_div_zero 0
		.amdhsa_exception_fp_ieee_overflow 0
		.amdhsa_exception_fp_ieee_underflow 0
		.amdhsa_exception_fp_ieee_inexact 0
		.amdhsa_exception_int_div_zero 0
	.end_amdhsa_kernel
	.section	.text._ZL10tri_kernelI14__hip_bfloat16Lb1ELi0EEvPKT_PS1_llllllllllll,"axG",@progbits,_ZL10tri_kernelI14__hip_bfloat16Lb1ELi0EEvPKT_PS1_llllllllllll,comdat
.Lfunc_end8:
	.size	_ZL10tri_kernelI14__hip_bfloat16Lb1ELi0EEvPKT_PS1_llllllllllll, .Lfunc_end8-_ZL10tri_kernelI14__hip_bfloat16Lb1ELi0EEvPKT_PS1_llllllllllll
                                        ; -- End function
	.set _ZL10tri_kernelI14__hip_bfloat16Lb1ELi0EEvPKT_PS1_llllllllllll.num_vgpr, 11
	.set _ZL10tri_kernelI14__hip_bfloat16Lb1ELi0EEvPKT_PS1_llllllllllll.num_agpr, 0
	.set _ZL10tri_kernelI14__hip_bfloat16Lb1ELi0EEvPKT_PS1_llllllllllll.numbered_sgpr, 32
	.set _ZL10tri_kernelI14__hip_bfloat16Lb1ELi0EEvPKT_PS1_llllllllllll.num_named_barrier, 0
	.set _ZL10tri_kernelI14__hip_bfloat16Lb1ELi0EEvPKT_PS1_llllllllllll.private_seg_size, 0
	.set _ZL10tri_kernelI14__hip_bfloat16Lb1ELi0EEvPKT_PS1_llllllllllll.uses_vcc, 1
	.set _ZL10tri_kernelI14__hip_bfloat16Lb1ELi0EEvPKT_PS1_llllllllllll.uses_flat_scratch, 0
	.set _ZL10tri_kernelI14__hip_bfloat16Lb1ELi0EEvPKT_PS1_llllllllllll.has_dyn_sized_stack, 0
	.set _ZL10tri_kernelI14__hip_bfloat16Lb1ELi0EEvPKT_PS1_llllllllllll.has_recursion, 0
	.set _ZL10tri_kernelI14__hip_bfloat16Lb1ELi0EEvPKT_PS1_llllllllllll.has_indirect_call, 0
	.section	.AMDGPU.csdata,"",@progbits
; Kernel info:
; codeLenInByte = 864
; TotalNumSgprs: 36
; NumVgprs: 11
; ScratchSize: 0
; MemoryBound: 0
; FloatMode: 240
; IeeeMode: 1
; LDSByteSize: 0 bytes/workgroup (compile time only)
; SGPRBlocks: 4
; VGPRBlocks: 2
; NumSGPRsForWavesPerEU: 36
; NumVGPRsForWavesPerEU: 11
; Occupancy: 10
; WaveLimiterHint : 0
; COMPUTE_PGM_RSRC2:SCRATCH_EN: 0
; COMPUTE_PGM_RSRC2:USER_SGPR: 6
; COMPUTE_PGM_RSRC2:TRAP_HANDLER: 0
; COMPUTE_PGM_RSRC2:TGID_X_EN: 1
; COMPUTE_PGM_RSRC2:TGID_Y_EN: 1
; COMPUTE_PGM_RSRC2:TGID_Z_EN: 1
; COMPUTE_PGM_RSRC2:TIDIG_COMP_CNT: 0
	.section	.text._ZL10tri_kernelI14__hip_bfloat16Lb1ELi1EEvPKT_PS1_llllllllllll,"axG",@progbits,_ZL10tri_kernelI14__hip_bfloat16Lb1ELi1EEvPKT_PS1_llllllllllll,comdat
	.globl	_ZL10tri_kernelI14__hip_bfloat16Lb1ELi1EEvPKT_PS1_llllllllllll ; -- Begin function _ZL10tri_kernelI14__hip_bfloat16Lb1ELi1EEvPKT_PS1_llllllllllll
	.p2align	8
	.type	_ZL10tri_kernelI14__hip_bfloat16Lb1ELi1EEvPKT_PS1_llllllllllll,@function
_ZL10tri_kernelI14__hip_bfloat16Lb1ELi1EEvPKT_PS1_llllllllllll: ; @_ZL10tri_kernelI14__hip_bfloat16Lb1ELi1EEvPKT_PS1_llllllllllll
; %bb.0:
	s_load_dwordx8 s[12:19], s[4:5], 0x0
	s_load_dwordx4 s[0:3], s[4:5], 0x20
	s_mov_b32 s9, 0
	v_mov_b32_e32 v1, s8
	s_mov_b32 s24, s7
	v_mov_b32_e32 v2, s9
	s_mov_b32 s25, s9
	s_waitcnt lgkmcnt(0)
	v_cmp_le_i64_e32 vcc, s[2:3], v[1:2]
	v_mov_b32_e32 v1, s24
	v_mov_b32_e32 v2, s25
	s_mov_b32 s7, s9
	v_cmp_le_i64_e64 s[0:1], s[0:1], v[1:2]
	v_mov_b32_e32 v1, s6
	v_mov_b32_e32 v2, s7
	v_cmp_le_i64_e64 s[2:3], s[18:19], v[1:2]
	s_or_b64 s[0:1], s[0:1], vcc
	s_or_b64 s[0:1], s[2:3], s[0:1]
	s_and_b64 vcc, exec, s[0:1]
	s_cbranch_vccnz .LBB9_14
; %bb.1:
	s_load_dwordx2 s[10:11], s[4:5], 0x68
	s_load_dwordx4 s[0:3], s[4:5], 0x58
	v_mov_b32_e32 v1, 0
	v_cmp_ge_u32_e32 vcc, s6, v0
	s_waitcnt lgkmcnt(0)
	s_mul_i32 s28, s11, s8
	s_mul_hi_u32 s30, s10, s8
	s_mul_i32 s20, s10, s8
	s_mul_i32 s27, s3, s24
	s_mul_hi_u32 s29, s2, s24
	s_mul_i32 s18, s2, s24
	;; [unrolled: 3-line block ×3, first 2 shown]
	s_and_saveexec_b64 s[22:23], vcc
	s_cbranch_execz .LBB9_4
; %bb.2:
	s_load_dword s9, s[4:5], 0x7c
	s_load_dwordx4 s[0:3], s[4:5], 0x38
	s_load_dwordx2 s[34:35], s[4:5], 0x48
	s_add_i32 s21, s30, s28
	s_add_i32 s19, s29, s27
	s_lshl_b64 s[36:37], s[20:21], 1
	s_waitcnt lgkmcnt(0)
	s_and_b32 s21, s9, 0xffff
	s_lshl_b64 s[38:39], s[18:19], 1
	s_add_u32 s9, s36, s38
	s_addc_u32 s19, s37, s39
	s_add_i32 s11, s26, s25
	s_lshl_b64 s[36:37], s[10:11], 1
	s_add_u32 s9, s9, s36
	s_addc_u32 s11, s19, s37
	v_lshlrev_b32_e32 v2, 1, v0
	s_add_u32 s9, s14, s9
	v_add_co_u32_e32 v3, vcc, s9, v2
	s_mul_i32 s9, s35, s8
	s_mul_hi_u32 s19, s34, s8
	s_addc_u32 s11, s15, s11
	s_add_i32 s9, s19, s9
	s_mul_i32 s3, s3, s24
	s_mul_hi_u32 s19, s2, s24
	s_mul_i32 s8, s34, s8
	s_add_i32 s3, s19, s3
	s_mul_i32 s2, s2, s24
	v_mov_b32_e32 v4, s11
	s_lshl_b32 s11, s21, 1
	s_lshl_b64 s[8:9], s[8:9], 1
	s_lshl_b64 s[2:3], s[2:3], 1
	s_add_u32 s2, s8, s2
	s_mul_i32 s1, s1, s6
	s_mul_hi_u32 s8, s0, s6
	s_addc_u32 s3, s9, s3
	s_add_i32 s1, s8, s1
	s_mul_i32 s0, s0, s6
	s_lshl_b64 s[0:1], s[0:1], 1
	s_add_u32 s0, s2, s0
	s_addc_u32 s1, s3, s1
	s_add_u32 s0, s12, s0
	v_addc_co_u32_e32 v4, vcc, 0, v4, vcc
	s_addc_u32 s1, s13, s1
	v_mov_b32_e32 v6, s1
	v_add_co_u32_e32 v5, vcc, s0, v2
	v_mov_b32_e32 v2, v1
	v_addc_co_u32_e32 v6, vcc, 0, v6, vcc
	s_mov_b64 s[2:3], 0
	s_mov_b64 s[8:9], 0
	v_mov_b32_e32 v1, v0
.LBB9_3:                                ; =>This Inner Loop Header: Depth=1
	v_mov_b32_e32 v9, s9
	v_add_co_u32_e32 v7, vcc, s8, v5
	v_addc_co_u32_e32 v8, vcc, v6, v9, vcc
	global_load_ushort v10, v[7:8], off
	v_add_co_u32_e32 v7, vcc, s8, v3
	v_add_co_u32_e64 v1, s[0:1], s21, v1
	v_addc_co_u32_e64 v2, s[0:1], 0, v2, s[0:1]
	v_addc_co_u32_e32 v8, vcc, v4, v9, vcc
	s_add_u32 s8, s8, s11
	v_cmp_lt_u64_e32 vcc, s[6:7], v[1:2]
	s_addc_u32 s9, s9, 0
	s_or_b64 s[2:3], vcc, s[2:3]
	s_waitcnt vmcnt(0)
	global_store_short v[7:8], v10, off
	s_andn2_b64 exec, exec, s[2:3]
	s_cbranch_execnz .LBB9_3
.LBB9_4:
	s_or_b64 exec, exec, s[22:23]
	s_add_u32 s0, s6, 1
	s_addc_u32 s1, 0, 0
	v_mov_b32_e32 v2, s1
	v_add_co_u32_e32 v1, vcc, s0, v0
	v_addc_co_u32_e32 v2, vcc, 0, v2, vcc
	v_cmp_gt_i64_e32 vcc, s[16:17], v[1:2]
	s_and_saveexec_b64 s[0:1], vcc
	s_cbranch_execz .LBB9_14
; %bb.5:
	v_add_co_u32_e32 v7, vcc, s6, v0
	v_addc_co_u32_e64 v8, s[0:1], 0, 0, vcc
	v_add_co_u32_e32 v3, vcc, 2, v7
	v_addc_co_u32_e32 v4, vcc, 0, v8, vcc
	s_load_dword s2, s[4:5], 0x7c
	v_cmp_gt_i64_e32 vcc, s[16:17], v[3:4]
	v_mov_b32_e32 v0, s17
	v_cndmask_b32_e32 v0, v4, v0, vcc
	v_mov_b32_e32 v4, s16
	v_cndmask_b32_e32 v3, v3, v4, vcc
	v_not_b32_e32 v5, v7
	v_not_b32_e32 v4, v8
	v_add_co_u32_e32 v3, vcc, v3, v5
	s_waitcnt lgkmcnt(0)
	s_and_b32 s12, s2, 0xffff
	v_addc_co_u32_e32 v4, vcc, v0, v4, vcc
	v_cmp_gt_u64_e32 vcc, 2, v[3:4]
	s_cmp_lg_u32 s12, 1
	s_cselect_b64 s[0:1], -1, 0
	s_or_b64 s[4:5], vcc, s[0:1]
	s_mov_b64 s[2:3], 0
	v_mov_b32_e32 v6, v4
                                        ; implicit-def: $sgpr0_sgpr1
	s_and_saveexec_b64 s[6:7], s[4:5]
	s_xor_b64 s[4:5], exec, s[6:7]
	s_cbranch_execz .LBB9_7
; %bb.6:
	s_add_i32 s21, s30, s28
	s_add_i32 s19, s29, s27
	s_lshl_b64 s[0:1], s[20:21], 1
	s_lshl_b64 s[6:7], s[18:19], 1
	s_add_u32 s6, s0, s6
	s_addc_u32 s7, s1, s7
	s_add_i32 s11, s26, s25
	s_lshl_b64 s[0:1], s[10:11], 1
	s_add_u32 s0, s6, s0
	s_mov_b64 s[2:3], exec
	s_addc_u32 s1, s7, s1
                                        ; implicit-def: $vgpr3_vgpr4
                                        ; implicit-def: $vgpr6
                                        ; implicit-def: $vgpr7_vgpr8
.LBB9_7:
	s_or_saveexec_b64 s[4:5], s[4:5]
	v_mov_b32_e32 v10, s1
	v_mov_b32_e32 v9, s0
	s_xor_b64 exec, exec, s[4:5]
	s_cbranch_execz .LBB9_11
; %bb.8:
	s_add_i32 s21, s30, s28
	s_add_i32 s19, s29, s27
	s_lshl_b64 s[0:1], s[20:21], 1
	s_lshl_b64 s[6:7], s[18:19], 1
	s_add_u32 s6, s0, s6
	s_addc_u32 s7, s1, s7
	s_add_i32 s11, s26, s25
	s_lshl_b64 s[0:1], s[10:11], 1
	s_add_u32 s6, s6, s0
	s_addc_u32 s7, s7, s1
	v_lshlrev_b64 v[7:8], 1, v[7:8]
	s_add_u32 s0, s14, s6
	s_addc_u32 s1, s15, s7
	v_mov_b32_e32 v0, s1
	v_add_co_u32_e32 v7, vcc, s0, v7
	v_addc_co_u32_e32 v0, vcc, v0, v8, vcc
	v_and_b32_e32 v5, -2, v3
	v_add_co_u32_e32 v7, vcc, 2, v7
	v_mov_b32_e32 v10, v6
	v_addc_co_u32_e32 v8, vcc, 0, v0, vcc
	s_mov_b64 s[8:9], 0
	v_mov_b32_e32 v0, 0
	v_mov_b32_e32 v9, v5
.LBB9_9:                                ; =>This Inner Loop Header: Depth=1
	v_add_co_u32_e64 v9, s[0:1], -2, v9
	v_addc_co_u32_e64 v10, s[0:1], -1, v10, s[0:1]
	v_cmp_eq_u64_e64 s[0:1], 0, v[9:10]
	global_store_dword v[7:8], v0, off
	v_add_co_u32_e32 v7, vcc, 4, v7
	s_or_b64 s[8:9], s[0:1], s[8:9]
	v_addc_co_u32_e32 v8, vcc, 0, v8, vcc
	s_andn2_b64 exec, exec, s[8:9]
	s_cbranch_execnz .LBB9_9
; %bb.10:
	s_or_b64 exec, exec, s[8:9]
	v_add_co_u32_e32 v1, vcc, v1, v5
	v_addc_co_u32_e32 v2, vcc, v2, v6, vcc
	v_cmp_ne_u64_e32 vcc, v[3:4], v[5:6]
	v_mov_b32_e32 v10, s7
	s_andn2_b64 s[0:1], s[2:3], exec
	s_and_b64 s[2:3], vcc, exec
	v_mov_b32_e32 v9, s6
	s_or_b64 s[2:3], s[0:1], s[2:3]
.LBB9_11:
	s_or_b64 exec, exec, s[4:5]
	s_and_b64 exec, exec, s[2:3]
	s_cbranch_execz .LBB9_14
; %bb.12:
	v_lshlrev_b64 v[3:4], 1, v[1:2]
	v_mov_b32_e32 v5, s15
	v_add_co_u32_e32 v0, vcc, v9, v3
	v_addc_co_u32_e32 v4, vcc, v10, v4, vcc
	v_add_co_u32_e32 v3, vcc, s14, v0
	v_addc_co_u32_e32 v4, vcc, v5, v4, vcc
	s_lshl_b32 s4, s12, 1
	s_mov_b64 s[2:3], 0
	v_mov_b32_e32 v0, 0
.LBB9_13:                               ; =>This Inner Loop Header: Depth=1
	v_add_co_u32_e32 v1, vcc, s12, v1
	v_addc_co_u32_e32 v2, vcc, 0, v2, vcc
	v_cmp_le_i64_e64 s[0:1], s[16:17], v[1:2]
	global_store_short v[3:4], v0, off
	v_add_co_u32_e32 v3, vcc, s4, v3
	s_or_b64 s[2:3], s[0:1], s[2:3]
	v_addc_co_u32_e32 v4, vcc, 0, v4, vcc
	s_andn2_b64 exec, exec, s[2:3]
	s_cbranch_execnz .LBB9_13
.LBB9_14:
	s_endpgm
	.section	.rodata,"a",@progbits
	.p2align	6, 0x0
	.amdhsa_kernel _ZL10tri_kernelI14__hip_bfloat16Lb1ELi1EEvPKT_PS1_llllllllllll
		.amdhsa_group_segment_fixed_size 0
		.amdhsa_private_segment_fixed_size 0
		.amdhsa_kernarg_size 368
		.amdhsa_user_sgpr_count 6
		.amdhsa_user_sgpr_private_segment_buffer 1
		.amdhsa_user_sgpr_dispatch_ptr 0
		.amdhsa_user_sgpr_queue_ptr 0
		.amdhsa_user_sgpr_kernarg_segment_ptr 1
		.amdhsa_user_sgpr_dispatch_id 0
		.amdhsa_user_sgpr_flat_scratch_init 0
		.amdhsa_user_sgpr_private_segment_size 0
		.amdhsa_uses_dynamic_stack 0
		.amdhsa_system_sgpr_private_segment_wavefront_offset 0
		.amdhsa_system_sgpr_workgroup_id_x 1
		.amdhsa_system_sgpr_workgroup_id_y 1
		.amdhsa_system_sgpr_workgroup_id_z 1
		.amdhsa_system_sgpr_workgroup_info 0
		.amdhsa_system_vgpr_workitem_id 0
		.amdhsa_next_free_vgpr 11
		.amdhsa_next_free_sgpr 40
		.amdhsa_reserve_vcc 1
		.amdhsa_reserve_flat_scratch 0
		.amdhsa_float_round_mode_32 0
		.amdhsa_float_round_mode_16_64 0
		.amdhsa_float_denorm_mode_32 3
		.amdhsa_float_denorm_mode_16_64 3
		.amdhsa_dx10_clamp 1
		.amdhsa_ieee_mode 1
		.amdhsa_fp16_overflow 0
		.amdhsa_exception_fp_ieee_invalid_op 0
		.amdhsa_exception_fp_denorm_src 0
		.amdhsa_exception_fp_ieee_div_zero 0
		.amdhsa_exception_fp_ieee_overflow 0
		.amdhsa_exception_fp_ieee_underflow 0
		.amdhsa_exception_fp_ieee_inexact 0
		.amdhsa_exception_int_div_zero 0
	.end_amdhsa_kernel
	.section	.text._ZL10tri_kernelI14__hip_bfloat16Lb1ELi1EEvPKT_PS1_llllllllllll,"axG",@progbits,_ZL10tri_kernelI14__hip_bfloat16Lb1ELi1EEvPKT_PS1_llllllllllll,comdat
.Lfunc_end9:
	.size	_ZL10tri_kernelI14__hip_bfloat16Lb1ELi1EEvPKT_PS1_llllllllllll, .Lfunc_end9-_ZL10tri_kernelI14__hip_bfloat16Lb1ELi1EEvPKT_PS1_llllllllllll
                                        ; -- End function
	.set _ZL10tri_kernelI14__hip_bfloat16Lb1ELi1EEvPKT_PS1_llllllllllll.num_vgpr, 11
	.set _ZL10tri_kernelI14__hip_bfloat16Lb1ELi1EEvPKT_PS1_llllllllllll.num_agpr, 0
	.set _ZL10tri_kernelI14__hip_bfloat16Lb1ELi1EEvPKT_PS1_llllllllllll.numbered_sgpr, 40
	.set _ZL10tri_kernelI14__hip_bfloat16Lb1ELi1EEvPKT_PS1_llllllllllll.num_named_barrier, 0
	.set _ZL10tri_kernelI14__hip_bfloat16Lb1ELi1EEvPKT_PS1_llllllllllll.private_seg_size, 0
	.set _ZL10tri_kernelI14__hip_bfloat16Lb1ELi1EEvPKT_PS1_llllllllllll.uses_vcc, 1
	.set _ZL10tri_kernelI14__hip_bfloat16Lb1ELi1EEvPKT_PS1_llllllllllll.uses_flat_scratch, 0
	.set _ZL10tri_kernelI14__hip_bfloat16Lb1ELi1EEvPKT_PS1_llllllllllll.has_dyn_sized_stack, 0
	.set _ZL10tri_kernelI14__hip_bfloat16Lb1ELi1EEvPKT_PS1_llllllllllll.has_recursion, 0
	.set _ZL10tri_kernelI14__hip_bfloat16Lb1ELi1EEvPKT_PS1_llllllllllll.has_indirect_call, 0
	.section	.AMDGPU.csdata,"",@progbits
; Kernel info:
; codeLenInByte = 960
; TotalNumSgprs: 44
; NumVgprs: 11
; ScratchSize: 0
; MemoryBound: 0
; FloatMode: 240
; IeeeMode: 1
; LDSByteSize: 0 bytes/workgroup (compile time only)
; SGPRBlocks: 5
; VGPRBlocks: 2
; NumSGPRsForWavesPerEU: 44
; NumVGPRsForWavesPerEU: 11
; Occupancy: 10
; WaveLimiterHint : 0
; COMPUTE_PGM_RSRC2:SCRATCH_EN: 0
; COMPUTE_PGM_RSRC2:USER_SGPR: 6
; COMPUTE_PGM_RSRC2:TRAP_HANDLER: 0
; COMPUTE_PGM_RSRC2:TGID_X_EN: 1
; COMPUTE_PGM_RSRC2:TGID_Y_EN: 1
; COMPUTE_PGM_RSRC2:TGID_Z_EN: 1
; COMPUTE_PGM_RSRC2:TIDIG_COMP_CNT: 0
	.section	.text._ZL10tri_kernelI14__hip_bfloat16Lb0ELi0EEvPKT_PS1_llllllllllll,"axG",@progbits,_ZL10tri_kernelI14__hip_bfloat16Lb0ELi0EEvPKT_PS1_llllllllllll,comdat
	.globl	_ZL10tri_kernelI14__hip_bfloat16Lb0ELi0EEvPKT_PS1_llllllllllll ; -- Begin function _ZL10tri_kernelI14__hip_bfloat16Lb0ELi0EEvPKT_PS1_llllllllllll
	.p2align	8
	.type	_ZL10tri_kernelI14__hip_bfloat16Lb0ELi0EEvPKT_PS1_llllllllllll,@function
_ZL10tri_kernelI14__hip_bfloat16Lb0ELi0EEvPKT_PS1_llllllllllll: ; @_ZL10tri_kernelI14__hip_bfloat16Lb0ELi0EEvPKT_PS1_llllllllllll
; %bb.0:
	s_load_dwordx8 s[12:19], s[4:5], 0x0
	s_load_dwordx4 s[0:3], s[4:5], 0x20
	s_mov_b32 s9, 0
	v_mov_b32_e32 v1, s8
	s_mov_b32 s10, s7
	v_mov_b32_e32 v2, s9
	s_mov_b32 s11, s9
	s_waitcnt lgkmcnt(0)
	v_cmp_le_i64_e32 vcc, s[2:3], v[1:2]
	v_mov_b32_e32 v1, s10
	v_mov_b32_e32 v2, s11
	s_mov_b32 s7, s9
	v_cmp_le_i64_e64 s[0:1], s[0:1], v[1:2]
	v_mov_b32_e32 v1, s6
	v_mov_b32_e32 v2, s7
	v_cmp_le_i64_e64 s[2:3], s[18:19], v[1:2]
	s_or_b64 s[0:1], s[0:1], vcc
	s_or_b64 s[0:1], s[2:3], s[0:1]
	s_and_b64 vcc, exec, s[0:1]
	s_cbranch_vccnz .LBB10_12
; %bb.1:
	s_load_dwordx4 s[20:23], s[4:5], 0x58
	s_load_dwordx2 s[0:1], s[4:5], 0x68
	v_mov_b32_e32 v1, 0
	v_cmp_gt_u32_e32 vcc, s6, v0
	s_waitcnt lgkmcnt(0)
	s_mul_i32 s3, s23, s10
	s_mul_hi_u32 s9, s22, s10
	s_mul_i32 s1, s1, s8
	s_add_i32 s3, s9, s3
	s_mul_hi_u32 s9, s0, s8
	s_mul_i32 s2, s22, s10
	s_add_i32 s19, s9, s1
	s_mul_i32 s18, s0, s8
	s_and_saveexec_b64 s[22:23], vcc
	s_cbranch_execz .LBB10_9
; %bb.2:
	s_load_dword s9, s[4:5], 0x7c
	v_add_u32_e32 v2, 1, v0
	v_mov_b32_e32 v3, v1
	v_cmp_lt_u64_e32 vcc, s[6:7], v[2:3]
	v_mov_b32_e32 v4, s6
	s_mul_i32 s0, s20, 0
	s_mul_hi_u32 s1, s20, s6
	v_cndmask_b32_e32 v2, v4, v2, vcc
	s_add_i32 s0, s1, s0
	s_mul_i32 s1, s21, s6
	v_sub_co_u32_e32 v2, vcc, v2, v0
	s_add_i32 s25, s0, s1
	s_waitcnt lgkmcnt(0)
	s_and_b32 s9, s9, 0xffff
	v_subb_co_u32_e64 v3, s[0:1], 0, 0, vcc
	v_cmp_lt_u64_e32 vcc, 1, v[2:3]
	s_cmp_eq_u32 s9, 1
	s_cselect_b64 s[0:1], -1, 0
	v_mov_b32_e32 v5, v1
	s_mul_i32 s24, s20, s6
	s_and_b64 s[28:29], vcc, s[0:1]
	s_mov_b64 s[0:1], -1
	v_mov_b32_e32 v4, v0
	s_and_saveexec_b64 s[26:27], s[28:29]
	s_cbranch_execz .LBB10_6
; %bb.3:
	s_lshl_b64 s[0:1], s[24:25], 1
	s_add_u32 s11, s14, s0
	s_addc_u32 s28, s15, s1
	s_lshl_b64 s[0:1], s[2:3], 1
	s_add_u32 s11, s11, s0
	s_addc_u32 s28, s28, s1
	;; [unrolled: 3-line block ×3, first 2 shown]
	v_mov_b32_e32 v5, v3
	v_lshlrev_b32_e32 v1, 1, v0
	v_and_b32_e32 v4, -2, v2
	v_mov_b32_e32 v7, s1
	v_add_co_u32_e32 v6, vcc, s0, v1
	v_mov_b32_e32 v9, v5
	v_addc_co_u32_e32 v7, vcc, 0, v7, vcc
	s_mov_b64 s[28:29], 0
	v_mov_b32_e32 v1, 0
	v_mov_b32_e32 v8, v4
.LBB10_4:                               ; =>This Inner Loop Header: Depth=1
	v_add_co_u32_e64 v8, s[0:1], -2, v8
	v_addc_co_u32_e64 v9, s[0:1], -1, v9, s[0:1]
	v_cmp_eq_u64_e64 s[0:1], 0, v[8:9]
	global_store_dword v[6:7], v1, off
	v_add_co_u32_e32 v6, vcc, 4, v6
	s_or_b64 s[28:29], s[0:1], s[28:29]
	v_addc_co_u32_e32 v7, vcc, 0, v7, vcc
	s_andn2_b64 exec, exec, s[28:29]
	s_cbranch_execnz .LBB10_4
; %bb.5:
	s_or_b64 exec, exec, s[28:29]
	v_cmp_ne_u64_e32 vcc, v[2:3], v[4:5]
	v_add_co_u32_e64 v4, s[0:1], v4, v0
	v_addc_co_u32_e64 v5, s[0:1], 0, v5, s[0:1]
	s_orn2_b64 s[0:1], vcc, exec
.LBB10_6:
	s_or_b64 exec, exec, s[26:27]
	s_and_b64 exec, exec, s[0:1]
	s_cbranch_execz .LBB10_9
; %bb.7:
	s_lshl_b64 s[0:1], s[18:19], 1
	s_lshl_b64 s[26:27], s[2:3], 1
	s_add_u32 s11, s0, s26
	s_addc_u32 s26, s1, s27
	s_lshl_b64 s[0:1], s[24:25], 1
	s_add_u32 s0, s11, s0
	s_addc_u32 s1, s26, s1
	v_lshlrev_b64 v[1:2], 1, v[4:5]
	s_add_u32 s0, s14, s0
	s_addc_u32 s1, s15, s1
	v_mov_b32_e32 v3, s1
	v_add_co_u32_e32 v1, vcc, s0, v1
	v_addc_co_u32_e32 v2, vcc, v3, v2, vcc
	s_lshl_b32 s11, s9, 1
	s_mov_b64 s[24:25], 0
	v_mov_b32_e32 v3, 0
.LBB10_8:                               ; =>This Inner Loop Header: Depth=1
	v_add_co_u32_e32 v4, vcc, s9, v4
	v_addc_co_u32_e32 v5, vcc, 0, v5, vcc
	v_cmp_le_u64_e64 s[0:1], s[6:7], v[4:5]
	global_store_short v[1:2], v3, off
	v_add_co_u32_e32 v1, vcc, s11, v1
	s_or_b64 s[24:25], s[0:1], s[24:25]
	v_addc_co_u32_e32 v2, vcc, 0, v2, vcc
	s_andn2_b64 exec, exec, s[24:25]
	s_cbranch_execnz .LBB10_8
.LBB10_9:
	s_or_b64 exec, exec, s[22:23]
	v_add_co_u32_e32 v1, vcc, s6, v0
	v_addc_co_u32_e64 v2, s[0:1], 0, 0, vcc
	v_cmp_gt_i64_e32 vcc, s[16:17], v[1:2]
	s_and_saveexec_b64 s[0:1], vcc
	s_cbranch_execz .LBB10_12
; %bb.10:
	s_load_dword s7, s[4:5], 0x7c
	s_load_dwordx4 s[24:27], s[4:5], 0x38
	s_load_dwordx2 s[0:1], s[4:5], 0x48
	s_lshl_b64 s[4:5], s[18:19], 1
	s_lshl_b64 s[2:3], s[2:3], 1
	s_waitcnt lgkmcnt(0)
	s_and_b32 s7, s7, 0xffff
	s_add_u32 s4, s4, s2
	s_addc_u32 s5, s5, s3
	s_lshl_b64 s[2:3], s[20:21], 1
	s_add_u32 s2, s2, 2
	s_addc_u32 s3, s3, 0
	s_mul_i32 s3, s3, s6
	s_mul_hi_u32 s9, s2, s6
	s_add_i32 s9, s9, s3
	s_mul_i32 s2, s2, s6
	s_add_u32 s2, s4, s2
	s_addc_u32 s3, s5, s9
	v_lshlrev_b32_e32 v4, 1, v0
	s_add_u32 s2, s14, s2
	s_addc_u32 s3, s15, s3
	v_add_co_u32_e32 v0, vcc, s2, v4
	s_mul_i32 s1, s1, s8
	s_mul_hi_u32 s2, s0, s8
	v_mov_b32_e32 v3, s3
	s_add_i32 s1, s2, s1
	s_mul_i32 s2, s27, s10
	s_mul_hi_u32 s3, s26, s10
	s_mul_i32 s0, s0, s8
	s_add_i32 s3, s3, s2
	s_mul_i32 s2, s26, s10
	s_lshl_b32 s9, s7, 1
	s_lshl_b64 s[0:1], s[0:1], 1
	s_lshl_b64 s[2:3], s[2:3], 1
	s_add_u32 s2, s0, s2
	s_addc_u32 s3, s1, s3
	s_lshl_b64 s[0:1], s[24:25], 1
	s_add_u32 s0, s0, 2
	s_addc_u32 s1, s1, 0
	s_mul_i32 s1, s1, s6
	s_mul_hi_u32 s4, s0, s6
	s_add_i32 s4, s4, s1
	s_mul_i32 s0, s0, s6
	s_add_u32 s0, s2, s0
	s_addc_u32 s1, s3, s4
	s_add_u32 s0, s12, s0
	v_addc_co_u32_e32 v3, vcc, 0, v3, vcc
	s_addc_u32 s1, s13, s1
	v_mov_b32_e32 v5, s1
	v_add_co_u32_e32 v4, vcc, s0, v4
	v_addc_co_u32_e32 v5, vcc, 0, v5, vcc
	s_mov_b64 s[2:3], 0
	s_mov_b64 s[4:5], 0
.LBB10_11:                              ; =>This Inner Loop Header: Depth=1
	v_mov_b32_e32 v8, s5
	v_add_co_u32_e32 v6, vcc, s4, v4
	v_addc_co_u32_e32 v7, vcc, v5, v8, vcc
	global_load_ushort v9, v[6:7], off
	v_add_co_u32_e32 v6, vcc, s4, v0
	v_add_co_u32_e64 v1, s[0:1], s7, v1
	v_addc_co_u32_e64 v2, s[0:1], 0, v2, s[0:1]
	v_addc_co_u32_e32 v7, vcc, v3, v8, vcc
	s_add_u32 s4, s4, s9
	v_cmp_le_i64_e32 vcc, s[16:17], v[1:2]
	s_addc_u32 s5, s5, 0
	s_or_b64 s[2:3], vcc, s[2:3]
	s_waitcnt vmcnt(0)
	global_store_short v[6:7], v9, off
	s_andn2_b64 exec, exec, s[2:3]
	s_cbranch_execnz .LBB10_11
.LBB10_12:
	s_endpgm
	.section	.rodata,"a",@progbits
	.p2align	6, 0x0
	.amdhsa_kernel _ZL10tri_kernelI14__hip_bfloat16Lb0ELi0EEvPKT_PS1_llllllllllll
		.amdhsa_group_segment_fixed_size 0
		.amdhsa_private_segment_fixed_size 0
		.amdhsa_kernarg_size 368
		.amdhsa_user_sgpr_count 6
		.amdhsa_user_sgpr_private_segment_buffer 1
		.amdhsa_user_sgpr_dispatch_ptr 0
		.amdhsa_user_sgpr_queue_ptr 0
		.amdhsa_user_sgpr_kernarg_segment_ptr 1
		.amdhsa_user_sgpr_dispatch_id 0
		.amdhsa_user_sgpr_flat_scratch_init 0
		.amdhsa_user_sgpr_private_segment_size 0
		.amdhsa_uses_dynamic_stack 0
		.amdhsa_system_sgpr_private_segment_wavefront_offset 0
		.amdhsa_system_sgpr_workgroup_id_x 1
		.amdhsa_system_sgpr_workgroup_id_y 1
		.amdhsa_system_sgpr_workgroup_id_z 1
		.amdhsa_system_sgpr_workgroup_info 0
		.amdhsa_system_vgpr_workitem_id 0
		.amdhsa_next_free_vgpr 10
		.amdhsa_next_free_sgpr 30
		.amdhsa_reserve_vcc 1
		.amdhsa_reserve_flat_scratch 0
		.amdhsa_float_round_mode_32 0
		.amdhsa_float_round_mode_16_64 0
		.amdhsa_float_denorm_mode_32 3
		.amdhsa_float_denorm_mode_16_64 3
		.amdhsa_dx10_clamp 1
		.amdhsa_ieee_mode 1
		.amdhsa_fp16_overflow 0
		.amdhsa_exception_fp_ieee_invalid_op 0
		.amdhsa_exception_fp_denorm_src 0
		.amdhsa_exception_fp_ieee_div_zero 0
		.amdhsa_exception_fp_ieee_overflow 0
		.amdhsa_exception_fp_ieee_underflow 0
		.amdhsa_exception_fp_ieee_inexact 0
		.amdhsa_exception_int_div_zero 0
	.end_amdhsa_kernel
	.section	.text._ZL10tri_kernelI14__hip_bfloat16Lb0ELi0EEvPKT_PS1_llllllllllll,"axG",@progbits,_ZL10tri_kernelI14__hip_bfloat16Lb0ELi0EEvPKT_PS1_llllllllllll,comdat
.Lfunc_end10:
	.size	_ZL10tri_kernelI14__hip_bfloat16Lb0ELi0EEvPKT_PS1_llllllllllll, .Lfunc_end10-_ZL10tri_kernelI14__hip_bfloat16Lb0ELi0EEvPKT_PS1_llllllllllll
                                        ; -- End function
	.set _ZL10tri_kernelI14__hip_bfloat16Lb0ELi0EEvPKT_PS1_llllllllllll.num_vgpr, 10
	.set _ZL10tri_kernelI14__hip_bfloat16Lb0ELi0EEvPKT_PS1_llllllllllll.num_agpr, 0
	.set _ZL10tri_kernelI14__hip_bfloat16Lb0ELi0EEvPKT_PS1_llllllllllll.numbered_sgpr, 30
	.set _ZL10tri_kernelI14__hip_bfloat16Lb0ELi0EEvPKT_PS1_llllllllllll.num_named_barrier, 0
	.set _ZL10tri_kernelI14__hip_bfloat16Lb0ELi0EEvPKT_PS1_llllllllllll.private_seg_size, 0
	.set _ZL10tri_kernelI14__hip_bfloat16Lb0ELi0EEvPKT_PS1_llllllllllll.uses_vcc, 1
	.set _ZL10tri_kernelI14__hip_bfloat16Lb0ELi0EEvPKT_PS1_llllllllllll.uses_flat_scratch, 0
	.set _ZL10tri_kernelI14__hip_bfloat16Lb0ELi0EEvPKT_PS1_llllllllllll.has_dyn_sized_stack, 0
	.set _ZL10tri_kernelI14__hip_bfloat16Lb0ELi0EEvPKT_PS1_llllllllllll.has_recursion, 0
	.set _ZL10tri_kernelI14__hip_bfloat16Lb0ELi0EEvPKT_PS1_llllllllllll.has_indirect_call, 0
	.section	.AMDGPU.csdata,"",@progbits
; Kernel info:
; codeLenInByte = 896
; TotalNumSgprs: 34
; NumVgprs: 10
; ScratchSize: 0
; MemoryBound: 0
; FloatMode: 240
; IeeeMode: 1
; LDSByteSize: 0 bytes/workgroup (compile time only)
; SGPRBlocks: 4
; VGPRBlocks: 2
; NumSGPRsForWavesPerEU: 34
; NumVGPRsForWavesPerEU: 10
; Occupancy: 10
; WaveLimiterHint : 0
; COMPUTE_PGM_RSRC2:SCRATCH_EN: 0
; COMPUTE_PGM_RSRC2:USER_SGPR: 6
; COMPUTE_PGM_RSRC2:TRAP_HANDLER: 0
; COMPUTE_PGM_RSRC2:TGID_X_EN: 1
; COMPUTE_PGM_RSRC2:TGID_Y_EN: 1
; COMPUTE_PGM_RSRC2:TGID_Z_EN: 1
; COMPUTE_PGM_RSRC2:TIDIG_COMP_CNT: 0
	.section	.text._ZL10tri_kernelI14__hip_bfloat16Lb0ELi1EEvPKT_PS1_llllllllllll,"axG",@progbits,_ZL10tri_kernelI14__hip_bfloat16Lb0ELi1EEvPKT_PS1_llllllllllll,comdat
	.globl	_ZL10tri_kernelI14__hip_bfloat16Lb0ELi1EEvPKT_PS1_llllllllllll ; -- Begin function _ZL10tri_kernelI14__hip_bfloat16Lb0ELi1EEvPKT_PS1_llllllllllll
	.p2align	8
	.type	_ZL10tri_kernelI14__hip_bfloat16Lb0ELi1EEvPKT_PS1_llllllllllll,@function
_ZL10tri_kernelI14__hip_bfloat16Lb0ELi1EEvPKT_PS1_llllllllllll: ; @_ZL10tri_kernelI14__hip_bfloat16Lb0ELi1EEvPKT_PS1_llllllllllll
; %bb.0:
	s_load_dwordx8 s[12:19], s[4:5], 0x0
	s_load_dwordx4 s[0:3], s[4:5], 0x20
	s_mov_b32 s9, 0
	v_mov_b32_e32 v1, s8
	s_mov_b32 s10, s7
	v_mov_b32_e32 v2, s9
	s_mov_b32 s11, s9
	s_waitcnt lgkmcnt(0)
	v_cmp_le_i64_e32 vcc, s[2:3], v[1:2]
	v_mov_b32_e32 v1, s10
	v_mov_b32_e32 v2, s11
	s_mov_b32 s7, s9
	v_cmp_le_i64_e64 s[0:1], s[0:1], v[1:2]
	v_mov_b32_e32 v1, s6
	v_mov_b32_e32 v2, s7
	v_cmp_le_i64_e64 s[2:3], s[18:19], v[1:2]
	s_or_b64 s[0:1], s[0:1], vcc
	s_or_b64 s[0:1], s[2:3], s[0:1]
	s_and_b64 vcc, exec, s[0:1]
	s_cbranch_vccnz .LBB11_12
; %bb.1:
	s_load_dwordx4 s[20:23], s[4:5], 0x58
	s_load_dwordx2 s[0:1], s[4:5], 0x68
	s_add_u32 s9, s6, 1
	s_addc_u32 s11, 0, 0
	v_mov_b32_e32 v1, 0
	s_waitcnt lgkmcnt(0)
	s_mul_i32 s2, s23, s10
	s_mul_hi_u32 s3, s22, s10
	s_add_i32 s19, s3, s2
	s_mul_i32 s1, s1, s8
	s_mul_hi_u32 s2, s0, s8
	s_mul_i32 s18, s22, s10
	s_add_i32 s23, s2, s1
	s_mul_i32 s22, s0, s8
	v_cmp_ge_u32_e32 vcc, s6, v0
	s_and_saveexec_b64 s[2:3], vcc
	s_cbranch_execz .LBB11_9
; %bb.2:
	s_load_dword s0, s[4:5], 0x7c
	s_mul_i32 s1, s21, s6
	s_mul_hi_u32 s25, s20, s6
	v_mov_b32_e32 v3, s11
	v_sub_co_u32_e32 v2, vcc, s9, v0
	s_add_i32 s25, s25, s1
	s_waitcnt lgkmcnt(0)
	s_and_b32 s30, s0, 0xffff
	v_subbrev_co_u32_e32 v3, vcc, 0, v3, vcc
	v_cmp_lt_u64_e32 vcc, 1, v[2:3]
	s_cmp_eq_u32 s30, 1
	s_cselect_b64 s[0:1], -1, 0
	v_mov_b32_e32 v5, v1
	s_mul_i32 s24, s20, s6
	s_and_b64 s[28:29], vcc, s[0:1]
	s_mov_b64 s[0:1], -1
	v_mov_b32_e32 v4, v0
	s_and_saveexec_b64 s[26:27], s[28:29]
	s_cbranch_execz .LBB11_6
; %bb.3:
	s_lshl_b64 s[0:1], s[24:25], 1
	s_add_u32 s28, s14, s0
	s_addc_u32 s29, s15, s1
	s_lshl_b64 s[0:1], s[18:19], 1
	s_add_u32 s28, s28, s0
	s_addc_u32 s29, s29, s1
	s_lshl_b64 s[0:1], s[22:23], 1
	s_add_u32 s0, s28, s0
	s_addc_u32 s1, s29, s1
	v_mov_b32_e32 v5, v3
	v_lshlrev_b32_e32 v1, 1, v0
	v_and_b32_e32 v4, -2, v2
	v_mov_b32_e32 v7, s1
	v_add_co_u32_e32 v6, vcc, s0, v1
	v_mov_b32_e32 v9, v5
	v_addc_co_u32_e32 v7, vcc, 0, v7, vcc
	s_mov_b64 s[28:29], 0
	v_mov_b32_e32 v1, 0
	v_mov_b32_e32 v8, v4
.LBB11_4:                               ; =>This Inner Loop Header: Depth=1
	v_add_co_u32_e64 v8, s[0:1], -2, v8
	v_addc_co_u32_e64 v9, s[0:1], -1, v9, s[0:1]
	v_cmp_eq_u64_e64 s[0:1], 0, v[8:9]
	global_store_dword v[6:7], v1, off
	v_add_co_u32_e32 v6, vcc, 4, v6
	s_or_b64 s[28:29], s[0:1], s[28:29]
	v_addc_co_u32_e32 v7, vcc, 0, v7, vcc
	s_andn2_b64 exec, exec, s[28:29]
	s_cbranch_execnz .LBB11_4
; %bb.5:
	s_or_b64 exec, exec, s[28:29]
	v_cmp_ne_u64_e32 vcc, v[2:3], v[4:5]
	v_add_co_u32_e64 v4, s[0:1], v4, v0
	v_addc_co_u32_e64 v5, s[0:1], 0, v5, s[0:1]
	s_orn2_b64 s[0:1], vcc, exec
.LBB11_6:
	s_or_b64 exec, exec, s[26:27]
	s_and_b64 exec, exec, s[0:1]
	s_cbranch_execz .LBB11_9
; %bb.7:
	s_lshl_b64 s[0:1], s[22:23], 1
	s_lshl_b64 s[26:27], s[18:19], 1
	s_add_u32 s26, s0, s26
	s_addc_u32 s27, s1, s27
	s_lshl_b64 s[0:1], s[24:25], 1
	s_add_u32 s0, s26, s0
	s_addc_u32 s1, s27, s1
	v_lshlrev_b64 v[1:2], 1, v[4:5]
	s_add_u32 s0, s14, s0
	s_addc_u32 s1, s15, s1
	v_mov_b32_e32 v3, s1
	v_add_co_u32_e32 v1, vcc, s0, v1
	v_addc_co_u32_e32 v2, vcc, v3, v2, vcc
	s_lshl_b32 s26, s30, 1
	s_mov_b64 s[24:25], 0
	v_mov_b32_e32 v3, 0
.LBB11_8:                               ; =>This Inner Loop Header: Depth=1
	v_add_co_u32_e32 v4, vcc, s30, v4
	v_addc_co_u32_e32 v5, vcc, 0, v5, vcc
	v_cmp_lt_u64_e64 s[0:1], s[6:7], v[4:5]
	global_store_short v[1:2], v3, off
	v_add_co_u32_e32 v1, vcc, s26, v1
	s_or_b64 s[24:25], s[0:1], s[24:25]
	v_addc_co_u32_e32 v2, vcc, 0, v2, vcc
	s_andn2_b64 exec, exec, s[24:25]
	s_cbranch_execnz .LBB11_8
.LBB11_9:
	s_or_b64 exec, exec, s[2:3]
	v_mov_b32_e32 v2, s11
	v_add_co_u32_e32 v1, vcc, s9, v0
	v_addc_co_u32_e32 v2, vcc, 0, v2, vcc
	v_cmp_gt_i64_e32 vcc, s[16:17], v[1:2]
	s_and_saveexec_b64 s[0:1], vcc
	s_cbranch_execz .LBB11_12
; %bb.10:
	s_load_dwordx4 s[0:3], s[4:5], 0x38
	s_load_dwordx2 s[24:25], s[4:5], 0x48
	s_load_dword s7, s[4:5], 0x7c
	v_mov_b32_e32 v5, s15
	v_mov_b32_e32 v7, s13
	s_waitcnt lgkmcnt(0)
	s_mul_i32 s3, s3, s10
	s_mul_hi_u32 s4, s2, s10
	s_add_i32 s4, s4, s3
	s_mul_i32 s3, s25, s8
	s_mul_hi_u32 s5, s24, s8
	s_add_i32 s5, s5, s3
	s_and_b32 s7, s7, 0xffff
	s_mul_i32 s3, s24, s8
	s_add_u32 s8, s22, s18
	s_addc_u32 s9, s23, s19
	s_mul_i32 s2, s2, s10
	s_add_u32 s10, s20, 1
	s_addc_u32 s11, s21, 0
	s_mul_i32 s11, s11, s6
	s_mul_hi_u32 s18, s10, s6
	s_add_i32 s18, s18, s11
	s_mul_i32 s10, s10, s6
	s_add_u32 s8, s8, s10
	s_addc_u32 s9, s9, s18
	v_add_co_u32_e32 v3, vcc, s8, v0
	s_lshl_b32 s8, s7, 1
	s_add_u32 s2, s3, s2
	s_addc_u32 s3, s5, s4
	v_mov_b32_e32 v4, s9
	s_add_u32 s0, s0, 1
	v_addc_co_u32_e32 v4, vcc, 0, v4, vcc
	s_addc_u32 s1, s1, 0
	v_lshlrev_b64 v[3:4], 1, v[3:4]
	s_mul_i32 s1, s1, s6
	s_mul_hi_u32 s4, s0, s6
	s_add_i32 s4, s4, s1
	s_mul_i32 s0, s0, s6
	v_add_co_u32_e32 v3, vcc, s14, v3
	s_add_u32 s0, s2, s0
	v_addc_co_u32_e32 v4, vcc, v5, v4, vcc
	s_addc_u32 s1, s3, s4
	v_mov_b32_e32 v6, s1
	v_add_co_u32_e32 v5, vcc, s0, v0
	v_addc_co_u32_e32 v6, vcc, 0, v6, vcc
	v_lshlrev_b64 v[5:6], 1, v[5:6]
	s_mov_b64 s[2:3], 2
	v_add_co_u32_e32 v0, vcc, s12, v5
	v_addc_co_u32_e32 v5, vcc, v7, v6, vcc
	s_mov_b64 s[4:5], 0
.LBB11_11:                              ; =>This Inner Loop Header: Depth=1
	v_mov_b32_e32 v8, s3
	v_add_co_u32_e32 v6, vcc, s2, v0
	v_addc_co_u32_e32 v7, vcc, v5, v8, vcc
	global_load_ushort v9, v[6:7], off
	v_add_co_u32_e32 v6, vcc, s2, v3
	v_add_co_u32_e64 v1, s[0:1], s7, v1
	v_addc_co_u32_e64 v2, s[0:1], 0, v2, s[0:1]
	v_addc_co_u32_e32 v7, vcc, v4, v8, vcc
	s_add_u32 s2, s2, s8
	v_cmp_le_i64_e32 vcc, s[16:17], v[1:2]
	s_addc_u32 s3, s3, 0
	s_or_b64 s[4:5], vcc, s[4:5]
	s_waitcnt vmcnt(0)
	global_store_short v[6:7], v9, off
	s_andn2_b64 exec, exec, s[4:5]
	s_cbranch_execnz .LBB11_11
.LBB11_12:
	s_endpgm
	.section	.rodata,"a",@progbits
	.p2align	6, 0x0
	.amdhsa_kernel _ZL10tri_kernelI14__hip_bfloat16Lb0ELi1EEvPKT_PS1_llllllllllll
		.amdhsa_group_segment_fixed_size 0
		.amdhsa_private_segment_fixed_size 0
		.amdhsa_kernarg_size 368
		.amdhsa_user_sgpr_count 6
		.amdhsa_user_sgpr_private_segment_buffer 1
		.amdhsa_user_sgpr_dispatch_ptr 0
		.amdhsa_user_sgpr_queue_ptr 0
		.amdhsa_user_sgpr_kernarg_segment_ptr 1
		.amdhsa_user_sgpr_dispatch_id 0
		.amdhsa_user_sgpr_flat_scratch_init 0
		.amdhsa_user_sgpr_private_segment_size 0
		.amdhsa_uses_dynamic_stack 0
		.amdhsa_system_sgpr_private_segment_wavefront_offset 0
		.amdhsa_system_sgpr_workgroup_id_x 1
		.amdhsa_system_sgpr_workgroup_id_y 1
		.amdhsa_system_sgpr_workgroup_id_z 1
		.amdhsa_system_sgpr_workgroup_info 0
		.amdhsa_system_vgpr_workitem_id 0
		.amdhsa_next_free_vgpr 10
		.amdhsa_next_free_sgpr 31
		.amdhsa_reserve_vcc 1
		.amdhsa_reserve_flat_scratch 0
		.amdhsa_float_round_mode_32 0
		.amdhsa_float_round_mode_16_64 0
		.amdhsa_float_denorm_mode_32 3
		.amdhsa_float_denorm_mode_16_64 3
		.amdhsa_dx10_clamp 1
		.amdhsa_ieee_mode 1
		.amdhsa_fp16_overflow 0
		.amdhsa_exception_fp_ieee_invalid_op 0
		.amdhsa_exception_fp_denorm_src 0
		.amdhsa_exception_fp_ieee_div_zero 0
		.amdhsa_exception_fp_ieee_overflow 0
		.amdhsa_exception_fp_ieee_underflow 0
		.amdhsa_exception_fp_ieee_inexact 0
		.amdhsa_exception_int_div_zero 0
	.end_amdhsa_kernel
	.section	.text._ZL10tri_kernelI14__hip_bfloat16Lb0ELi1EEvPKT_PS1_llllllllllll,"axG",@progbits,_ZL10tri_kernelI14__hip_bfloat16Lb0ELi1EEvPKT_PS1_llllllllllll,comdat
.Lfunc_end11:
	.size	_ZL10tri_kernelI14__hip_bfloat16Lb0ELi1EEvPKT_PS1_llllllllllll, .Lfunc_end11-_ZL10tri_kernelI14__hip_bfloat16Lb0ELi1EEvPKT_PS1_llllllllllll
                                        ; -- End function
	.set _ZL10tri_kernelI14__hip_bfloat16Lb0ELi1EEvPKT_PS1_llllllllllll.num_vgpr, 10
	.set _ZL10tri_kernelI14__hip_bfloat16Lb0ELi1EEvPKT_PS1_llllllllllll.num_agpr, 0
	.set _ZL10tri_kernelI14__hip_bfloat16Lb0ELi1EEvPKT_PS1_llllllllllll.numbered_sgpr, 31
	.set _ZL10tri_kernelI14__hip_bfloat16Lb0ELi1EEvPKT_PS1_llllllllllll.num_named_barrier, 0
	.set _ZL10tri_kernelI14__hip_bfloat16Lb0ELi1EEvPKT_PS1_llllllllllll.private_seg_size, 0
	.set _ZL10tri_kernelI14__hip_bfloat16Lb0ELi1EEvPKT_PS1_llllllllllll.uses_vcc, 1
	.set _ZL10tri_kernelI14__hip_bfloat16Lb0ELi1EEvPKT_PS1_llllllllllll.uses_flat_scratch, 0
	.set _ZL10tri_kernelI14__hip_bfloat16Lb0ELi1EEvPKT_PS1_llllllllllll.has_dyn_sized_stack, 0
	.set _ZL10tri_kernelI14__hip_bfloat16Lb0ELi1EEvPKT_PS1_llllllllllll.has_recursion, 0
	.set _ZL10tri_kernelI14__hip_bfloat16Lb0ELi1EEvPKT_PS1_llllllllllll.has_indirect_call, 0
	.section	.AMDGPU.csdata,"",@progbits
; Kernel info:
; codeLenInByte = 872
; TotalNumSgprs: 35
; NumVgprs: 10
; ScratchSize: 0
; MemoryBound: 0
; FloatMode: 240
; IeeeMode: 1
; LDSByteSize: 0 bytes/workgroup (compile time only)
; SGPRBlocks: 4
; VGPRBlocks: 2
; NumSGPRsForWavesPerEU: 35
; NumVGPRsForWavesPerEU: 10
; Occupancy: 10
; WaveLimiterHint : 0
; COMPUTE_PGM_RSRC2:SCRATCH_EN: 0
; COMPUTE_PGM_RSRC2:USER_SGPR: 6
; COMPUTE_PGM_RSRC2:TRAP_HANDLER: 0
; COMPUTE_PGM_RSRC2:TGID_X_EN: 1
; COMPUTE_PGM_RSRC2:TGID_Y_EN: 1
; COMPUTE_PGM_RSRC2:TGID_Z_EN: 1
; COMPUTE_PGM_RSRC2:TIDIG_COMP_CNT: 0
	.section	.AMDGPU.gpr_maximums,"",@progbits
	.set amdgpu.max_num_vgpr, 0
	.set amdgpu.max_num_agpr, 0
	.set amdgpu.max_num_sgpr, 0
	.section	.AMDGPU.csdata,"",@progbits
	.type	__hip_cuid_acbbbda02cd5129f,@object ; @__hip_cuid_acbbbda02cd5129f
	.section	.bss,"aw",@nobits
	.globl	__hip_cuid_acbbbda02cd5129f
__hip_cuid_acbbbda02cd5129f:
	.byte	0                               ; 0x0
	.size	__hip_cuid_acbbbda02cd5129f, 1

	.ident	"AMD clang version 22.0.0git (https://github.com/RadeonOpenCompute/llvm-project roc-7.2.4 26084 f58b06dce1f9c15707c5f808fd002e18c2accf7e)"
	.section	".note.GNU-stack","",@progbits
	.addrsig
	.addrsig_sym __hip_cuid_acbbbda02cd5129f
	.amdgpu_metadata
---
amdhsa.kernels:
  - .args:
      - .address_space:  global
        .offset:         0
        .size:           8
        .value_kind:     global_buffer
      - .address_space:  global
        .offset:         8
        .size:           8
        .value_kind:     global_buffer
      - .offset:         16
        .size:           8
        .value_kind:     by_value
      - .offset:         24
        .size:           8
        .value_kind:     by_value
      - .offset:         32
        .size:           8
        .value_kind:     by_value
      - .offset:         40
        .size:           8
        .value_kind:     by_value
      - .offset:         48
        .size:           8
        .value_kind:     by_value
      - .offset:         56
        .size:           8
        .value_kind:     by_value
      - .offset:         64
        .size:           8
        .value_kind:     by_value
      - .offset:         72
        .size:           8
        .value_kind:     by_value
      - .offset:         80
        .size:           8
        .value_kind:     by_value
      - .offset:         88
        .size:           8
        .value_kind:     by_value
      - .offset:         96
        .size:           8
        .value_kind:     by_value
      - .offset:         104
        .size:           8
        .value_kind:     by_value
      - .offset:         112
        .size:           4
        .value_kind:     hidden_block_count_x
      - .offset:         116
        .size:           4
        .value_kind:     hidden_block_count_y
      - .offset:         120
        .size:           4
        .value_kind:     hidden_block_count_z
      - .offset:         124
        .size:           2
        .value_kind:     hidden_group_size_x
      - .offset:         126
        .size:           2
        .value_kind:     hidden_group_size_y
      - .offset:         128
        .size:           2
        .value_kind:     hidden_group_size_z
      - .offset:         130
        .size:           2
        .value_kind:     hidden_remainder_x
      - .offset:         132
        .size:           2
        .value_kind:     hidden_remainder_y
      - .offset:         134
        .size:           2
        .value_kind:     hidden_remainder_z
      - .offset:         152
        .size:           8
        .value_kind:     hidden_global_offset_x
      - .offset:         160
        .size:           8
        .value_kind:     hidden_global_offset_y
      - .offset:         168
        .size:           8
        .value_kind:     hidden_global_offset_z
      - .offset:         176
        .size:           2
        .value_kind:     hidden_grid_dims
    .group_segment_fixed_size: 0
    .kernarg_segment_align: 8
    .kernarg_segment_size: 368
    .language:       OpenCL C
    .language_version:
      - 2
      - 0
    .max_flat_workgroup_size: 1024
    .name:           _ZL10tri_kernelIfLb1ELi0EEvPKT_PS0_llllllllllll
    .private_segment_fixed_size: 0
    .sgpr_count:     44
    .sgpr_spill_count: 0
    .symbol:         _ZL10tri_kernelIfLb1ELi0EEvPKT_PS0_llllllllllll.kd
    .uniform_work_group_size: 1
    .uses_dynamic_stack: false
    .vgpr_count:     11
    .vgpr_spill_count: 0
    .wavefront_size: 64
  - .args:
      - .address_space:  global
        .offset:         0
        .size:           8
        .value_kind:     global_buffer
      - .address_space:  global
        .offset:         8
        .size:           8
        .value_kind:     global_buffer
      - .offset:         16
        .size:           8
        .value_kind:     by_value
      - .offset:         24
        .size:           8
        .value_kind:     by_value
      - .offset:         32
        .size:           8
        .value_kind:     by_value
      - .offset:         40
        .size:           8
        .value_kind:     by_value
      - .offset:         48
        .size:           8
        .value_kind:     by_value
      - .offset:         56
        .size:           8
        .value_kind:     by_value
      - .offset:         64
        .size:           8
        .value_kind:     by_value
      - .offset:         72
        .size:           8
        .value_kind:     by_value
      - .offset:         80
        .size:           8
        .value_kind:     by_value
      - .offset:         88
        .size:           8
        .value_kind:     by_value
      - .offset:         96
        .size:           8
        .value_kind:     by_value
      - .offset:         104
        .size:           8
        .value_kind:     by_value
      - .offset:         112
        .size:           4
        .value_kind:     hidden_block_count_x
      - .offset:         116
        .size:           4
        .value_kind:     hidden_block_count_y
      - .offset:         120
        .size:           4
        .value_kind:     hidden_block_count_z
      - .offset:         124
        .size:           2
        .value_kind:     hidden_group_size_x
      - .offset:         126
        .size:           2
        .value_kind:     hidden_group_size_y
      - .offset:         128
        .size:           2
        .value_kind:     hidden_group_size_z
      - .offset:         130
        .size:           2
        .value_kind:     hidden_remainder_x
      - .offset:         132
        .size:           2
        .value_kind:     hidden_remainder_y
      - .offset:         134
        .size:           2
        .value_kind:     hidden_remainder_z
      - .offset:         152
        .size:           8
        .value_kind:     hidden_global_offset_x
      - .offset:         160
        .size:           8
        .value_kind:     hidden_global_offset_y
      - .offset:         168
        .size:           8
        .value_kind:     hidden_global_offset_z
      - .offset:         176
        .size:           2
        .value_kind:     hidden_grid_dims
    .group_segment_fixed_size: 0
    .kernarg_segment_align: 8
    .kernarg_segment_size: 368
    .language:       OpenCL C
    .language_version:
      - 2
      - 0
    .max_flat_workgroup_size: 1024
    .name:           _ZL10tri_kernelIfLb1ELi1EEvPKT_PS0_llllllllllll
    .private_segment_fixed_size: 0
    .sgpr_count:     40
    .sgpr_spill_count: 0
    .symbol:         _ZL10tri_kernelIfLb1ELi1EEvPKT_PS0_llllllllllll.kd
    .uniform_work_group_size: 1
    .uses_dynamic_stack: false
    .vgpr_count:     11
    .vgpr_spill_count: 0
    .wavefront_size: 64
  - .args:
      - .address_space:  global
        .offset:         0
        .size:           8
        .value_kind:     global_buffer
      - .address_space:  global
        .offset:         8
        .size:           8
        .value_kind:     global_buffer
      - .offset:         16
        .size:           8
        .value_kind:     by_value
      - .offset:         24
        .size:           8
        .value_kind:     by_value
      - .offset:         32
        .size:           8
        .value_kind:     by_value
      - .offset:         40
        .size:           8
        .value_kind:     by_value
      - .offset:         48
        .size:           8
        .value_kind:     by_value
      - .offset:         56
        .size:           8
        .value_kind:     by_value
      - .offset:         64
        .size:           8
        .value_kind:     by_value
      - .offset:         72
        .size:           8
        .value_kind:     by_value
      - .offset:         80
        .size:           8
        .value_kind:     by_value
      - .offset:         88
        .size:           8
        .value_kind:     by_value
      - .offset:         96
        .size:           8
        .value_kind:     by_value
      - .offset:         104
        .size:           8
        .value_kind:     by_value
      - .offset:         112
        .size:           4
        .value_kind:     hidden_block_count_x
      - .offset:         116
        .size:           4
        .value_kind:     hidden_block_count_y
      - .offset:         120
        .size:           4
        .value_kind:     hidden_block_count_z
      - .offset:         124
        .size:           2
        .value_kind:     hidden_group_size_x
      - .offset:         126
        .size:           2
        .value_kind:     hidden_group_size_y
      - .offset:         128
        .size:           2
        .value_kind:     hidden_group_size_z
      - .offset:         130
        .size:           2
        .value_kind:     hidden_remainder_x
      - .offset:         132
        .size:           2
        .value_kind:     hidden_remainder_y
      - .offset:         134
        .size:           2
        .value_kind:     hidden_remainder_z
      - .offset:         152
        .size:           8
        .value_kind:     hidden_global_offset_x
      - .offset:         160
        .size:           8
        .value_kind:     hidden_global_offset_y
      - .offset:         168
        .size:           8
        .value_kind:     hidden_global_offset_z
      - .offset:         176
        .size:           2
        .value_kind:     hidden_grid_dims
    .group_segment_fixed_size: 0
    .kernarg_segment_align: 8
    .kernarg_segment_size: 368
    .language:       OpenCL C
    .language_version:
      - 2
      - 0
    .max_flat_workgroup_size: 1024
    .name:           _ZL10tri_kernelIfLb0ELi0EEvPKT_PS0_llllllllllll
    .private_segment_fixed_size: 0
    .sgpr_count:     33
    .sgpr_spill_count: 0
    .symbol:         _ZL10tri_kernelIfLb0ELi0EEvPKT_PS0_llllllllllll.kd
    .uniform_work_group_size: 1
    .uses_dynamic_stack: false
    .vgpr_count:     10
    .vgpr_spill_count: 0
    .wavefront_size: 64
  - .args:
      - .address_space:  global
        .offset:         0
        .size:           8
        .value_kind:     global_buffer
      - .address_space:  global
        .offset:         8
        .size:           8
        .value_kind:     global_buffer
      - .offset:         16
        .size:           8
        .value_kind:     by_value
      - .offset:         24
        .size:           8
        .value_kind:     by_value
      - .offset:         32
        .size:           8
        .value_kind:     by_value
      - .offset:         40
        .size:           8
        .value_kind:     by_value
      - .offset:         48
        .size:           8
        .value_kind:     by_value
      - .offset:         56
        .size:           8
        .value_kind:     by_value
      - .offset:         64
        .size:           8
        .value_kind:     by_value
      - .offset:         72
        .size:           8
        .value_kind:     by_value
      - .offset:         80
        .size:           8
        .value_kind:     by_value
      - .offset:         88
        .size:           8
        .value_kind:     by_value
      - .offset:         96
        .size:           8
        .value_kind:     by_value
      - .offset:         104
        .size:           8
        .value_kind:     by_value
      - .offset:         112
        .size:           4
        .value_kind:     hidden_block_count_x
      - .offset:         116
        .size:           4
        .value_kind:     hidden_block_count_y
      - .offset:         120
        .size:           4
        .value_kind:     hidden_block_count_z
      - .offset:         124
        .size:           2
        .value_kind:     hidden_group_size_x
      - .offset:         126
        .size:           2
        .value_kind:     hidden_group_size_y
      - .offset:         128
        .size:           2
        .value_kind:     hidden_group_size_z
      - .offset:         130
        .size:           2
        .value_kind:     hidden_remainder_x
      - .offset:         132
        .size:           2
        .value_kind:     hidden_remainder_y
      - .offset:         134
        .size:           2
        .value_kind:     hidden_remainder_z
      - .offset:         152
        .size:           8
        .value_kind:     hidden_global_offset_x
      - .offset:         160
        .size:           8
        .value_kind:     hidden_global_offset_y
      - .offset:         168
        .size:           8
        .value_kind:     hidden_global_offset_z
      - .offset:         176
        .size:           2
        .value_kind:     hidden_grid_dims
    .group_segment_fixed_size: 0
    .kernarg_segment_align: 8
    .kernarg_segment_size: 368
    .language:       OpenCL C
    .language_version:
      - 2
      - 0
    .max_flat_workgroup_size: 1024
    .name:           _ZL10tri_kernelIfLb0ELi1EEvPKT_PS0_llllllllllll
    .private_segment_fixed_size: 0
    .sgpr_count:     31
    .sgpr_spill_count: 0
    .symbol:         _ZL10tri_kernelIfLb0ELi1EEvPKT_PS0_llllllllllll.kd
    .uniform_work_group_size: 1
    .uses_dynamic_stack: false
    .vgpr_count:     10
    .vgpr_spill_count: 0
    .wavefront_size: 64
  - .args:
      - .address_space:  global
        .offset:         0
        .size:           8
        .value_kind:     global_buffer
      - .address_space:  global
        .offset:         8
        .size:           8
        .value_kind:     global_buffer
      - .offset:         16
        .size:           8
        .value_kind:     by_value
      - .offset:         24
        .size:           8
        .value_kind:     by_value
      - .offset:         32
        .size:           8
        .value_kind:     by_value
      - .offset:         40
        .size:           8
        .value_kind:     by_value
      - .offset:         48
        .size:           8
        .value_kind:     by_value
      - .offset:         56
        .size:           8
        .value_kind:     by_value
      - .offset:         64
        .size:           8
        .value_kind:     by_value
      - .offset:         72
        .size:           8
        .value_kind:     by_value
      - .offset:         80
        .size:           8
        .value_kind:     by_value
      - .offset:         88
        .size:           8
        .value_kind:     by_value
      - .offset:         96
        .size:           8
        .value_kind:     by_value
      - .offset:         104
        .size:           8
        .value_kind:     by_value
      - .offset:         112
        .size:           4
        .value_kind:     hidden_block_count_x
      - .offset:         116
        .size:           4
        .value_kind:     hidden_block_count_y
      - .offset:         120
        .size:           4
        .value_kind:     hidden_block_count_z
      - .offset:         124
        .size:           2
        .value_kind:     hidden_group_size_x
      - .offset:         126
        .size:           2
        .value_kind:     hidden_group_size_y
      - .offset:         128
        .size:           2
        .value_kind:     hidden_group_size_z
      - .offset:         130
        .size:           2
        .value_kind:     hidden_remainder_x
      - .offset:         132
        .size:           2
        .value_kind:     hidden_remainder_y
      - .offset:         134
        .size:           2
        .value_kind:     hidden_remainder_z
      - .offset:         152
        .size:           8
        .value_kind:     hidden_global_offset_x
      - .offset:         160
        .size:           8
        .value_kind:     hidden_global_offset_y
      - .offset:         168
        .size:           8
        .value_kind:     hidden_global_offset_z
      - .offset:         176
        .size:           2
        .value_kind:     hidden_grid_dims
    .group_segment_fixed_size: 0
    .kernarg_segment_align: 8
    .kernarg_segment_size: 368
    .language:       OpenCL C
    .language_version:
      - 2
      - 0
    .max_flat_workgroup_size: 1024
    .name:           _ZL10tri_kernelI6__halfLb1ELi0EEvPKT_PS1_llllllllllll
    .private_segment_fixed_size: 0
    .sgpr_count:     36
    .sgpr_spill_count: 0
    .symbol:         _ZL10tri_kernelI6__halfLb1ELi0EEvPKT_PS1_llllllllllll.kd
    .uniform_work_group_size: 1
    .uses_dynamic_stack: false
    .vgpr_count:     11
    .vgpr_spill_count: 0
    .wavefront_size: 64
  - .args:
      - .address_space:  global
        .offset:         0
        .size:           8
        .value_kind:     global_buffer
      - .address_space:  global
        .offset:         8
        .size:           8
        .value_kind:     global_buffer
      - .offset:         16
        .size:           8
        .value_kind:     by_value
      - .offset:         24
        .size:           8
        .value_kind:     by_value
      - .offset:         32
        .size:           8
        .value_kind:     by_value
      - .offset:         40
        .size:           8
        .value_kind:     by_value
      - .offset:         48
        .size:           8
        .value_kind:     by_value
      - .offset:         56
        .size:           8
        .value_kind:     by_value
      - .offset:         64
        .size:           8
        .value_kind:     by_value
      - .offset:         72
        .size:           8
        .value_kind:     by_value
      - .offset:         80
        .size:           8
        .value_kind:     by_value
      - .offset:         88
        .size:           8
        .value_kind:     by_value
      - .offset:         96
        .size:           8
        .value_kind:     by_value
      - .offset:         104
        .size:           8
        .value_kind:     by_value
      - .offset:         112
        .size:           4
        .value_kind:     hidden_block_count_x
      - .offset:         116
        .size:           4
        .value_kind:     hidden_block_count_y
      - .offset:         120
        .size:           4
        .value_kind:     hidden_block_count_z
      - .offset:         124
        .size:           2
        .value_kind:     hidden_group_size_x
      - .offset:         126
        .size:           2
        .value_kind:     hidden_group_size_y
      - .offset:         128
        .size:           2
        .value_kind:     hidden_group_size_z
      - .offset:         130
        .size:           2
        .value_kind:     hidden_remainder_x
      - .offset:         132
        .size:           2
        .value_kind:     hidden_remainder_y
      - .offset:         134
        .size:           2
        .value_kind:     hidden_remainder_z
      - .offset:         152
        .size:           8
        .value_kind:     hidden_global_offset_x
      - .offset:         160
        .size:           8
        .value_kind:     hidden_global_offset_y
      - .offset:         168
        .size:           8
        .value_kind:     hidden_global_offset_z
      - .offset:         176
        .size:           2
        .value_kind:     hidden_grid_dims
    .group_segment_fixed_size: 0
    .kernarg_segment_align: 8
    .kernarg_segment_size: 368
    .language:       OpenCL C
    .language_version:
      - 2
      - 0
    .max_flat_workgroup_size: 1024
    .name:           _ZL10tri_kernelI6__halfLb1ELi1EEvPKT_PS1_llllllllllll
    .private_segment_fixed_size: 0
    .sgpr_count:     44
    .sgpr_spill_count: 0
    .symbol:         _ZL10tri_kernelI6__halfLb1ELi1EEvPKT_PS1_llllllllllll.kd
    .uniform_work_group_size: 1
    .uses_dynamic_stack: false
    .vgpr_count:     11
    .vgpr_spill_count: 0
    .wavefront_size: 64
  - .args:
      - .address_space:  global
        .offset:         0
        .size:           8
        .value_kind:     global_buffer
      - .address_space:  global
        .offset:         8
        .size:           8
        .value_kind:     global_buffer
      - .offset:         16
        .size:           8
        .value_kind:     by_value
      - .offset:         24
        .size:           8
        .value_kind:     by_value
      - .offset:         32
        .size:           8
        .value_kind:     by_value
      - .offset:         40
        .size:           8
        .value_kind:     by_value
      - .offset:         48
        .size:           8
        .value_kind:     by_value
      - .offset:         56
        .size:           8
        .value_kind:     by_value
      - .offset:         64
        .size:           8
        .value_kind:     by_value
      - .offset:         72
        .size:           8
        .value_kind:     by_value
      - .offset:         80
        .size:           8
        .value_kind:     by_value
      - .offset:         88
        .size:           8
        .value_kind:     by_value
      - .offset:         96
        .size:           8
        .value_kind:     by_value
      - .offset:         104
        .size:           8
        .value_kind:     by_value
      - .offset:         112
        .size:           4
        .value_kind:     hidden_block_count_x
      - .offset:         116
        .size:           4
        .value_kind:     hidden_block_count_y
      - .offset:         120
        .size:           4
        .value_kind:     hidden_block_count_z
      - .offset:         124
        .size:           2
        .value_kind:     hidden_group_size_x
      - .offset:         126
        .size:           2
        .value_kind:     hidden_group_size_y
      - .offset:         128
        .size:           2
        .value_kind:     hidden_group_size_z
      - .offset:         130
        .size:           2
        .value_kind:     hidden_remainder_x
      - .offset:         132
        .size:           2
        .value_kind:     hidden_remainder_y
      - .offset:         134
        .size:           2
        .value_kind:     hidden_remainder_z
      - .offset:         152
        .size:           8
        .value_kind:     hidden_global_offset_x
      - .offset:         160
        .size:           8
        .value_kind:     hidden_global_offset_y
      - .offset:         168
        .size:           8
        .value_kind:     hidden_global_offset_z
      - .offset:         176
        .size:           2
        .value_kind:     hidden_grid_dims
    .group_segment_fixed_size: 0
    .kernarg_segment_align: 8
    .kernarg_segment_size: 368
    .language:       OpenCL C
    .language_version:
      - 2
      - 0
    .max_flat_workgroup_size: 1024
    .name:           _ZL10tri_kernelI6__halfLb0ELi0EEvPKT_PS1_llllllllllll
    .private_segment_fixed_size: 0
    .sgpr_count:     34
    .sgpr_spill_count: 0
    .symbol:         _ZL10tri_kernelI6__halfLb0ELi0EEvPKT_PS1_llllllllllll.kd
    .uniform_work_group_size: 1
    .uses_dynamic_stack: false
    .vgpr_count:     10
    .vgpr_spill_count: 0
    .wavefront_size: 64
  - .args:
      - .address_space:  global
        .offset:         0
        .size:           8
        .value_kind:     global_buffer
      - .address_space:  global
        .offset:         8
        .size:           8
        .value_kind:     global_buffer
      - .offset:         16
        .size:           8
        .value_kind:     by_value
      - .offset:         24
        .size:           8
        .value_kind:     by_value
      - .offset:         32
        .size:           8
        .value_kind:     by_value
      - .offset:         40
        .size:           8
        .value_kind:     by_value
      - .offset:         48
        .size:           8
        .value_kind:     by_value
      - .offset:         56
        .size:           8
        .value_kind:     by_value
      - .offset:         64
        .size:           8
        .value_kind:     by_value
      - .offset:         72
        .size:           8
        .value_kind:     by_value
      - .offset:         80
        .size:           8
        .value_kind:     by_value
      - .offset:         88
        .size:           8
        .value_kind:     by_value
      - .offset:         96
        .size:           8
        .value_kind:     by_value
      - .offset:         104
        .size:           8
        .value_kind:     by_value
      - .offset:         112
        .size:           4
        .value_kind:     hidden_block_count_x
      - .offset:         116
        .size:           4
        .value_kind:     hidden_block_count_y
      - .offset:         120
        .size:           4
        .value_kind:     hidden_block_count_z
      - .offset:         124
        .size:           2
        .value_kind:     hidden_group_size_x
      - .offset:         126
        .size:           2
        .value_kind:     hidden_group_size_y
      - .offset:         128
        .size:           2
        .value_kind:     hidden_group_size_z
      - .offset:         130
        .size:           2
        .value_kind:     hidden_remainder_x
      - .offset:         132
        .size:           2
        .value_kind:     hidden_remainder_y
      - .offset:         134
        .size:           2
        .value_kind:     hidden_remainder_z
      - .offset:         152
        .size:           8
        .value_kind:     hidden_global_offset_x
      - .offset:         160
        .size:           8
        .value_kind:     hidden_global_offset_y
      - .offset:         168
        .size:           8
        .value_kind:     hidden_global_offset_z
      - .offset:         176
        .size:           2
        .value_kind:     hidden_grid_dims
    .group_segment_fixed_size: 0
    .kernarg_segment_align: 8
    .kernarg_segment_size: 368
    .language:       OpenCL C
    .language_version:
      - 2
      - 0
    .max_flat_workgroup_size: 1024
    .name:           _ZL10tri_kernelI6__halfLb0ELi1EEvPKT_PS1_llllllllllll
    .private_segment_fixed_size: 0
    .sgpr_count:     35
    .sgpr_spill_count: 0
    .symbol:         _ZL10tri_kernelI6__halfLb0ELi1EEvPKT_PS1_llllllllllll.kd
    .uniform_work_group_size: 1
    .uses_dynamic_stack: false
    .vgpr_count:     10
    .vgpr_spill_count: 0
    .wavefront_size: 64
  - .args:
      - .address_space:  global
        .offset:         0
        .size:           8
        .value_kind:     global_buffer
      - .address_space:  global
        .offset:         8
        .size:           8
        .value_kind:     global_buffer
      - .offset:         16
        .size:           8
        .value_kind:     by_value
      - .offset:         24
        .size:           8
        .value_kind:     by_value
      - .offset:         32
        .size:           8
        .value_kind:     by_value
      - .offset:         40
        .size:           8
        .value_kind:     by_value
      - .offset:         48
        .size:           8
        .value_kind:     by_value
      - .offset:         56
        .size:           8
        .value_kind:     by_value
      - .offset:         64
        .size:           8
        .value_kind:     by_value
      - .offset:         72
        .size:           8
        .value_kind:     by_value
      - .offset:         80
        .size:           8
        .value_kind:     by_value
      - .offset:         88
        .size:           8
        .value_kind:     by_value
      - .offset:         96
        .size:           8
        .value_kind:     by_value
      - .offset:         104
        .size:           8
        .value_kind:     by_value
      - .offset:         112
        .size:           4
        .value_kind:     hidden_block_count_x
      - .offset:         116
        .size:           4
        .value_kind:     hidden_block_count_y
      - .offset:         120
        .size:           4
        .value_kind:     hidden_block_count_z
      - .offset:         124
        .size:           2
        .value_kind:     hidden_group_size_x
      - .offset:         126
        .size:           2
        .value_kind:     hidden_group_size_y
      - .offset:         128
        .size:           2
        .value_kind:     hidden_group_size_z
      - .offset:         130
        .size:           2
        .value_kind:     hidden_remainder_x
      - .offset:         132
        .size:           2
        .value_kind:     hidden_remainder_y
      - .offset:         134
        .size:           2
        .value_kind:     hidden_remainder_z
      - .offset:         152
        .size:           8
        .value_kind:     hidden_global_offset_x
      - .offset:         160
        .size:           8
        .value_kind:     hidden_global_offset_y
      - .offset:         168
        .size:           8
        .value_kind:     hidden_global_offset_z
      - .offset:         176
        .size:           2
        .value_kind:     hidden_grid_dims
    .group_segment_fixed_size: 0
    .kernarg_segment_align: 8
    .kernarg_segment_size: 368
    .language:       OpenCL C
    .language_version:
      - 2
      - 0
    .max_flat_workgroup_size: 1024
    .name:           _ZL10tri_kernelI14__hip_bfloat16Lb1ELi0EEvPKT_PS1_llllllllllll
    .private_segment_fixed_size: 0
    .sgpr_count:     36
    .sgpr_spill_count: 0
    .symbol:         _ZL10tri_kernelI14__hip_bfloat16Lb1ELi0EEvPKT_PS1_llllllllllll.kd
    .uniform_work_group_size: 1
    .uses_dynamic_stack: false
    .vgpr_count:     11
    .vgpr_spill_count: 0
    .wavefront_size: 64
  - .args:
      - .address_space:  global
        .offset:         0
        .size:           8
        .value_kind:     global_buffer
      - .address_space:  global
        .offset:         8
        .size:           8
        .value_kind:     global_buffer
      - .offset:         16
        .size:           8
        .value_kind:     by_value
      - .offset:         24
        .size:           8
        .value_kind:     by_value
      - .offset:         32
        .size:           8
        .value_kind:     by_value
      - .offset:         40
        .size:           8
        .value_kind:     by_value
      - .offset:         48
        .size:           8
        .value_kind:     by_value
      - .offset:         56
        .size:           8
        .value_kind:     by_value
      - .offset:         64
        .size:           8
        .value_kind:     by_value
      - .offset:         72
        .size:           8
        .value_kind:     by_value
      - .offset:         80
        .size:           8
        .value_kind:     by_value
      - .offset:         88
        .size:           8
        .value_kind:     by_value
      - .offset:         96
        .size:           8
        .value_kind:     by_value
      - .offset:         104
        .size:           8
        .value_kind:     by_value
      - .offset:         112
        .size:           4
        .value_kind:     hidden_block_count_x
      - .offset:         116
        .size:           4
        .value_kind:     hidden_block_count_y
      - .offset:         120
        .size:           4
        .value_kind:     hidden_block_count_z
      - .offset:         124
        .size:           2
        .value_kind:     hidden_group_size_x
      - .offset:         126
        .size:           2
        .value_kind:     hidden_group_size_y
      - .offset:         128
        .size:           2
        .value_kind:     hidden_group_size_z
      - .offset:         130
        .size:           2
        .value_kind:     hidden_remainder_x
      - .offset:         132
        .size:           2
        .value_kind:     hidden_remainder_y
      - .offset:         134
        .size:           2
        .value_kind:     hidden_remainder_z
      - .offset:         152
        .size:           8
        .value_kind:     hidden_global_offset_x
      - .offset:         160
        .size:           8
        .value_kind:     hidden_global_offset_y
      - .offset:         168
        .size:           8
        .value_kind:     hidden_global_offset_z
      - .offset:         176
        .size:           2
        .value_kind:     hidden_grid_dims
    .group_segment_fixed_size: 0
    .kernarg_segment_align: 8
    .kernarg_segment_size: 368
    .language:       OpenCL C
    .language_version:
      - 2
      - 0
    .max_flat_workgroup_size: 1024
    .name:           _ZL10tri_kernelI14__hip_bfloat16Lb1ELi1EEvPKT_PS1_llllllllllll
    .private_segment_fixed_size: 0
    .sgpr_count:     44
    .sgpr_spill_count: 0
    .symbol:         _ZL10tri_kernelI14__hip_bfloat16Lb1ELi1EEvPKT_PS1_llllllllllll.kd
    .uniform_work_group_size: 1
    .uses_dynamic_stack: false
    .vgpr_count:     11
    .vgpr_spill_count: 0
    .wavefront_size: 64
  - .args:
      - .address_space:  global
        .offset:         0
        .size:           8
        .value_kind:     global_buffer
      - .address_space:  global
        .offset:         8
        .size:           8
        .value_kind:     global_buffer
      - .offset:         16
        .size:           8
        .value_kind:     by_value
      - .offset:         24
        .size:           8
        .value_kind:     by_value
      - .offset:         32
        .size:           8
        .value_kind:     by_value
      - .offset:         40
        .size:           8
        .value_kind:     by_value
      - .offset:         48
        .size:           8
        .value_kind:     by_value
      - .offset:         56
        .size:           8
        .value_kind:     by_value
      - .offset:         64
        .size:           8
        .value_kind:     by_value
      - .offset:         72
        .size:           8
        .value_kind:     by_value
      - .offset:         80
        .size:           8
        .value_kind:     by_value
      - .offset:         88
        .size:           8
        .value_kind:     by_value
      - .offset:         96
        .size:           8
        .value_kind:     by_value
      - .offset:         104
        .size:           8
        .value_kind:     by_value
      - .offset:         112
        .size:           4
        .value_kind:     hidden_block_count_x
      - .offset:         116
        .size:           4
        .value_kind:     hidden_block_count_y
      - .offset:         120
        .size:           4
        .value_kind:     hidden_block_count_z
      - .offset:         124
        .size:           2
        .value_kind:     hidden_group_size_x
      - .offset:         126
        .size:           2
        .value_kind:     hidden_group_size_y
      - .offset:         128
        .size:           2
        .value_kind:     hidden_group_size_z
      - .offset:         130
        .size:           2
        .value_kind:     hidden_remainder_x
      - .offset:         132
        .size:           2
        .value_kind:     hidden_remainder_y
      - .offset:         134
        .size:           2
        .value_kind:     hidden_remainder_z
      - .offset:         152
        .size:           8
        .value_kind:     hidden_global_offset_x
      - .offset:         160
        .size:           8
        .value_kind:     hidden_global_offset_y
      - .offset:         168
        .size:           8
        .value_kind:     hidden_global_offset_z
      - .offset:         176
        .size:           2
        .value_kind:     hidden_grid_dims
    .group_segment_fixed_size: 0
    .kernarg_segment_align: 8
    .kernarg_segment_size: 368
    .language:       OpenCL C
    .language_version:
      - 2
      - 0
    .max_flat_workgroup_size: 1024
    .name:           _ZL10tri_kernelI14__hip_bfloat16Lb0ELi0EEvPKT_PS1_llllllllllll
    .private_segment_fixed_size: 0
    .sgpr_count:     34
    .sgpr_spill_count: 0
    .symbol:         _ZL10tri_kernelI14__hip_bfloat16Lb0ELi0EEvPKT_PS1_llllllllllll.kd
    .uniform_work_group_size: 1
    .uses_dynamic_stack: false
    .vgpr_count:     10
    .vgpr_spill_count: 0
    .wavefront_size: 64
  - .args:
      - .address_space:  global
        .offset:         0
        .size:           8
        .value_kind:     global_buffer
      - .address_space:  global
        .offset:         8
        .size:           8
        .value_kind:     global_buffer
      - .offset:         16
        .size:           8
        .value_kind:     by_value
      - .offset:         24
        .size:           8
        .value_kind:     by_value
      - .offset:         32
        .size:           8
        .value_kind:     by_value
      - .offset:         40
        .size:           8
        .value_kind:     by_value
      - .offset:         48
        .size:           8
        .value_kind:     by_value
      - .offset:         56
        .size:           8
        .value_kind:     by_value
      - .offset:         64
        .size:           8
        .value_kind:     by_value
      - .offset:         72
        .size:           8
        .value_kind:     by_value
      - .offset:         80
        .size:           8
        .value_kind:     by_value
      - .offset:         88
        .size:           8
        .value_kind:     by_value
      - .offset:         96
        .size:           8
        .value_kind:     by_value
      - .offset:         104
        .size:           8
        .value_kind:     by_value
      - .offset:         112
        .size:           4
        .value_kind:     hidden_block_count_x
      - .offset:         116
        .size:           4
        .value_kind:     hidden_block_count_y
      - .offset:         120
        .size:           4
        .value_kind:     hidden_block_count_z
      - .offset:         124
        .size:           2
        .value_kind:     hidden_group_size_x
      - .offset:         126
        .size:           2
        .value_kind:     hidden_group_size_y
      - .offset:         128
        .size:           2
        .value_kind:     hidden_group_size_z
      - .offset:         130
        .size:           2
        .value_kind:     hidden_remainder_x
      - .offset:         132
        .size:           2
        .value_kind:     hidden_remainder_y
      - .offset:         134
        .size:           2
        .value_kind:     hidden_remainder_z
      - .offset:         152
        .size:           8
        .value_kind:     hidden_global_offset_x
      - .offset:         160
        .size:           8
        .value_kind:     hidden_global_offset_y
      - .offset:         168
        .size:           8
        .value_kind:     hidden_global_offset_z
      - .offset:         176
        .size:           2
        .value_kind:     hidden_grid_dims
    .group_segment_fixed_size: 0
    .kernarg_segment_align: 8
    .kernarg_segment_size: 368
    .language:       OpenCL C
    .language_version:
      - 2
      - 0
    .max_flat_workgroup_size: 1024
    .name:           _ZL10tri_kernelI14__hip_bfloat16Lb0ELi1EEvPKT_PS1_llllllllllll
    .private_segment_fixed_size: 0
    .sgpr_count:     35
    .sgpr_spill_count: 0
    .symbol:         _ZL10tri_kernelI14__hip_bfloat16Lb0ELi1EEvPKT_PS1_llllllllllll.kd
    .uniform_work_group_size: 1
    .uses_dynamic_stack: false
    .vgpr_count:     10
    .vgpr_spill_count: 0
    .wavefront_size: 64
amdhsa.target:   amdgcn-amd-amdhsa--gfx906
amdhsa.version:
  - 1
  - 2
...

	.end_amdgpu_metadata
